;; amdgpu-corpus repo=ROCm/rocFFT kind=compiled arch=gfx950 opt=O3
	.text
	.amdgcn_target "amdgcn-amd-amdhsa--gfx950"
	.amdhsa_code_object_version 6
	.protected	bluestein_single_back_len819_dim1_sp_op_CI_CI ; -- Begin function bluestein_single_back_len819_dim1_sp_op_CI_CI
	.globl	bluestein_single_back_len819_dim1_sp_op_CI_CI
	.p2align	8
	.type	bluestein_single_back_len819_dim1_sp_op_CI_CI,@function
bluestein_single_back_len819_dim1_sp_op_CI_CI: ; @bluestein_single_back_len819_dim1_sp_op_CI_CI
; %bb.0:
	s_load_dwordx4 s[8:11], s[0:1], 0x28
	v_mul_u32_u24_e32 v1, 0x231, v0
	v_add_u32_sdwa v62, s2, v1 dst_sel:DWORD dst_unused:UNUSED_PAD src0_sel:DWORD src1_sel:WORD_1
	v_mov_b32_e32 v63, 0
	s_waitcnt lgkmcnt(0)
	v_cmp_gt_u64_e32 vcc, s[8:9], v[62:63]
	s_and_saveexec_b64 s[2:3], vcc
	s_cbranch_execz .LBB0_25
; %bb.1:
	s_load_dwordx2 s[16:17], s[0:1], 0x0
	s_load_dwordx2 s[18:19], s[0:1], 0x38
	s_movk_i32 s2, 0x75
	v_mul_lo_u16_sdwa v1, v1, s2 dst_sel:DWORD dst_unused:UNUSED_PAD src0_sel:WORD_1 src1_sel:DWORD
	v_sub_u16_e32 v63, v0, v1
	s_movk_i32 s2, 0x5a
	s_movk_i32 s4, 0x5b
	v_cmp_lt_u16_e64 s[2:3], s2, v63
	v_cmp_gt_u16_e64 s[8:9], s4, v63
	v_lshlrev_b32_e32 v60, 3, v63
	s_and_saveexec_b64 s[12:13], s[8:9]
	s_cbranch_execz .LBB0_3
; %bb.2:
	s_load_dwordx2 s[4:5], s[0:1], 0x18
	v_mov_b32_e32 v0, s10
	v_mov_b32_e32 v1, s11
	;; [unrolled: 1-line block ×4, first 2 shown]
	s_waitcnt lgkmcnt(0)
	s_load_dwordx4 s[4:7], s[4:5], 0x0
	v_add_u32_e32 v40, 0x1000, v60
	s_waitcnt lgkmcnt(0)
	v_mad_u64_u32 v[2:3], s[10:11], s6, v62, 0
	v_mad_u64_u32 v[4:5], s[10:11], s4, v63, 0
	v_mov_b32_e32 v6, v3
	v_mov_b32_e32 v8, v5
	v_mad_u64_u32 v[6:7], s[6:7], s7, v62, v[6:7]
	v_mov_b32_e32 v3, v6
	v_mad_u64_u32 v[6:7], s[6:7], s5, v63, v[8:9]
	v_mov_b32_e32 v5, v6
	v_lshl_add_u64 v[0:1], v[2:3], 3, v[0:1]
	v_lshl_add_u64 v[0:1], v[4:5], 3, v[0:1]
	global_load_dwordx2 v[2:3], v[0:1], off
	v_mad_u64_u32 v[0:1], s[6:7], s4, v36, v[0:1]
	s_mul_i32 s10, s5, 0x2d8
	v_add_u32_e32 v1, s10, v1
	v_mad_u64_u32 v[10:11], s[6:7], s4, v36, v[0:1]
	v_add_u32_e32 v11, s10, v11
	v_mad_u64_u32 v[12:13], s[6:7], s4, v36, v[10:11]
	;; [unrolled: 2-line block ×3, first 2 shown]
	global_load_dwordx2 v[6:7], v60, s[16:17]
	global_load_dwordx2 v[8:9], v60, s[16:17] offset:728
	v_add_u32_e32 v15, s10, v15
	global_load_dwordx2 v[0:1], v[0:1], off
	s_nop 0
	global_load_dwordx2 v[16:17], v[10:11], off
	global_load_dwordx2 v[18:19], v[12:13], off
	global_load_dwordx2 v[20:21], v[14:15], off
	global_load_dwordx2 v[22:23], v60, s[16:17] offset:1456
	global_load_dwordx2 v[24:25], v60, s[16:17] offset:2184
	;; [unrolled: 1-line block ×3, first 2 shown]
	v_mad_u64_u32 v[10:11], s[6:7], s4, v36, v[14:15]
	v_add_u32_e32 v11, s10, v11
	global_load_dwordx2 v[12:13], v[10:11], off
	global_load_dwordx2 v[14:15], v60, s[16:17] offset:3640
	v_mad_u64_u32 v[10:11], s[6:7], s4, v36, v[10:11]
	v_lshl_add_u64 v[4:5], s[16:17], 0, v[60:61]
	v_add_u32_e32 v11, s10, v11
	s_movk_i32 s5, 0x1000
	global_load_dwordx2 v[28:29], v[10:11], off
	v_add_co_u32_e32 v4, vcc, s5, v4
	v_mad_u64_u32 v[10:11], s[6:7], s4, v36, v[10:11]
	s_nop 0
	v_addc_co_u32_e32 v5, vcc, 0, v5, vcc
	v_add_u32_e32 v11, s10, v11
	global_load_dwordx2 v[30:31], v[4:5], off offset:272
	global_load_dwordx2 v[32:33], v[10:11], off
	global_load_dwordx2 v[34:35], v[4:5], off offset:1000
	v_mad_u64_u32 v[10:11], s[4:5], s4, v36, v[10:11]
	v_add_u32_e32 v11, s10, v11
	global_load_dwordx2 v[36:37], v[4:5], off offset:1728
	global_load_dwordx2 v[38:39], v[10:11], off
	v_add_u32_e32 v10, 0x400, v60
	v_add_u32_e32 v11, 0x800, v60
	s_waitcnt vmcnt(16)
	v_mul_f32_e32 v4, v3, v7
	v_mul_f32_e32 v5, v2, v7
	v_fmac_f32_e32 v4, v2, v6
	v_fma_f32 v5, v3, v6, -v5
	s_waitcnt vmcnt(14)
	v_mul_f32_e32 v2, v1, v9
	v_mul_f32_e32 v3, v0, v9
	v_fmac_f32_e32 v2, v0, v8
	v_fma_f32 v3, v1, v8, -v3
	ds_write2_b64 v60, v[4:5], v[2:3] offset1:91
	s_waitcnt vmcnt(10)
	v_mul_f32_e32 v0, v17, v23
	v_mul_f32_e32 v1, v16, v23
	s_waitcnt vmcnt(9)
	v_mul_f32_e32 v2, v19, v25
	v_mul_f32_e32 v3, v18, v25
	v_fmac_f32_e32 v0, v16, v22
	v_fma_f32 v1, v17, v22, -v1
	v_fmac_f32_e32 v2, v18, v24
	v_fma_f32 v3, v19, v24, -v3
	ds_write2_b64 v10, v[0:1], v[2:3] offset0:54 offset1:145
	s_waitcnt vmcnt(8)
	v_mul_f32_e32 v0, v21, v27
	v_mul_f32_e32 v1, v20, v27
	s_waitcnt vmcnt(6)
	v_mul_f32_e32 v2, v13, v15
	v_mul_f32_e32 v3, v12, v15
	v_fmac_f32_e32 v0, v20, v26
	v_fma_f32 v1, v21, v26, -v1
	v_fmac_f32_e32 v2, v12, v14
	v_fma_f32 v3, v13, v14, -v3
	ds_write2_b64 v11, v[0:1], v[2:3] offset0:108 offset1:199
	;; [unrolled: 11-line block ×3, first 2 shown]
	s_waitcnt vmcnt(0)
	v_mul_f32_e32 v0, v39, v37
	v_mul_f32_e32 v1, v38, v37
	v_fmac_f32_e32 v0, v38, v36
	v_fma_f32 v1, v39, v36, -v1
	ds_write_b64 v60, v[0:1] offset:5824
.LBB0_3:
	s_or_b64 exec, exec, s[12:13]
	s_load_dwordx2 s[4:5], s[0:1], 0x20
	s_load_dwordx2 s[10:11], s[0:1], 0x8
	v_mov_b64_e32 v[2:3], 0
	v_mov_b64_e32 v[8:9], v[2:3]
	;; [unrolled: 1-line block ×4, first 2 shown]
	s_waitcnt lgkmcnt(0)
	s_barrier
	s_waitcnt lgkmcnt(0)
                                        ; implicit-def: $vgpr14
                                        ; implicit-def: $vgpr24
	s_and_saveexec_b64 s[0:1], s[8:9]
	s_cbranch_execz .LBB0_5
; %bb.4:
	v_add_u32_e32 v4, 0x400, v60
	ds_read2_b64 v[8:11], v4 offset0:54 offset1:145
	v_add_u32_e32 v4, 0x800, v60
	v_add_u32_e32 v12, 0x1000, v60
	ds_read2_b64 v[0:3], v60 offset1:91
	ds_read2_b64 v[4:7], v4 offset0:108 offset1:199
	ds_read2_b64 v[12:15], v12 offset0:34 offset1:125
	ds_read_b64 v[24:25], v60 offset:5824
.LBB0_5:
	s_or_b64 exec, exec, s[0:1]
	s_waitcnt lgkmcnt(0)
	v_pk_add_f32 v[16:17], v[24:25], v[2:3]
	v_pk_add_f32 v[18:19], v[14:15], v[8:9]
	v_mov_b32_e32 v22, v3
	v_mov_b32_e32 v23, v8
	v_mov_b32_e32 v26, v25
	v_mov_b32_e32 v27, v14
	v_mov_b32_e32 v8, v9
	v_mov_b32_e32 v9, v2
	v_mov_b32_e32 v2, v15
	v_mov_b32_e32 v3, v24
	s_mov_b32 s0, 0x3f248dbb
	v_pk_add_f32 v[22:23], v[22:23], v[26:27] neg_lo:[0,1] neg_hi:[0,1]
	v_pk_add_f32 v[24:25], v[8:9], v[2:3] neg_lo:[0,1] neg_hi:[0,1]
	;; [unrolled: 1-line block ×3, first 2 shown]
	s_mov_b32 s20, 0x3f5db3d7
	s_mov_b32 s1, 0x3f7c1c5c
	v_pk_mul_f32 v[30:31], v[2:3], s[20:21] op_sel_hi:[1,0]
	v_pk_mul_f32 v[2:3], v[22:23], s[0:1]
	s_mov_b32 s6, s1
	s_mov_b32 s7, s0
	v_pk_fma_f32 v[2:3], v[24:25], s[6:7], v[2:3]
	s_mov_b32 s6, 0x3eaf1d44
	v_pk_add_f32 v[8:9], v[2:3], v[30:31] op_sel:[0,1] op_sel_hi:[1,0]
	v_pk_add_f32 v[2:3], v[4:5], v[6:7] neg_lo:[0,1] neg_hi:[0,1]
	v_pk_add_f32 v[20:21], v[12:13], v[10:11]
	v_pk_mul_f32 v[10:11], v[2:3], s[6:7] op_sel_hi:[1,0]
	s_mov_b32 s12, 0x3f441b7d
	v_pk_add_f32 v[12:13], v[8:9], v[10:11] op_sel:[0,1] op_sel_hi:[1,0]
	v_pk_fma_f32 v[8:9], v[16:17], s[12:13], v[0:1] op_sel_hi:[1,0,1]
	s_mov_b32 s14, 0x3e31d0d4
	v_pk_fma_f32 v[8:9], v[18:19], s[14:15], v[8:9] op_sel_hi:[1,0,1]
	s_mov_b32 s22, 0x3f708fb2
	v_pk_fma_f32 v[10:11], v[20:21], 0.5, v[8:9] op_sel_hi:[1,0,1] neg_lo:[1,0,0] neg_hi:[1,0,0]
	v_pk_add_f32 v[8:9], v[6:7], v[4:5]
	v_pk_mul_f32 v[14:15], v[2:3], s[0:1] op_sel_hi:[1,0]
	v_pk_fma_f32 v[10:11], v[8:9], s[22:23], v[10:11] op_sel_hi:[1,0,1] neg_lo:[1,0,0] neg_hi:[1,0,0]
	s_mov_b32 s0, s1
	v_pk_add_f32 v[32:33], v[10:11], v[12:13]
	v_pk_add_f32 v[10:11], v[10:11], v[12:13] neg_lo:[0,1] neg_hi:[0,1]
	v_mov_b32_e32 v26, v24
	v_mov_b32_e32 v33, v11
	;; [unrolled: 1-line block ×4, first 2 shown]
	v_pk_fma_f32 v[14:15], v[10:11], s[0:1], v[14:15] op_sel:[0,0,1] op_sel_hi:[1,0,0] neg_lo:[0,0,1] neg_hi:[0,0,1]
	v_mov_b32_e32 v27, v23
	v_pk_add_f32 v[14:15], v[14:15], v[30:31] op_sel:[0,1] op_sel_hi:[1,0] neg_lo:[0,1] neg_hi:[0,1]
	v_pk_fma_f32 v[38:39], v[12:13], 2.0, v[32:33] op_sel_hi:[1,0,1] neg_lo:[1,0,0] neg_hi:[1,0,0]
	v_pk_fma_f32 v[34:35], v[26:27], s[6:7], v[14:15] op_sel_hi:[1,0,1]
	v_pk_fma_f32 v[14:15], v[8:9], s[12:13], v[0:1] op_sel_hi:[1,0,1]
	v_mul_lo_u16_e32 v118, 9, v63
	v_pk_fma_f32 v[14:15], v[16:17], s[14:15], v[14:15] op_sel_hi:[1,0,1]
	s_nop 0
	v_pk_fma_f32 v[14:15], v[20:21], 0.5, v[14:15] op_sel_hi:[1,0,1] neg_lo:[1,0,0] neg_hi:[1,0,0]
	s_barrier
	v_pk_fma_f32 v[14:15], v[18:19], s[22:23], v[14:15] op_sel_hi:[1,0,1] neg_lo:[1,0,0] neg_hi:[1,0,0]
	s_nop 0
	v_pk_add_f32 v[28:29], v[14:15], v[34:35]
	v_pk_add_f32 v[14:15], v[14:15], v[34:35] neg_lo:[0,1] neg_hi:[0,1]
	s_nop 0
	v_mov_b32_e32 v29, v15
	v_pk_fma_f32 v[44:45], v[34:35], 2.0, v[28:29] op_sel_hi:[1,0,1] neg_lo:[1,0,0] neg_hi:[1,0,0]
	v_pk_fma_f32 v[14:15], v[12:13], 2.0, v[32:33] op_sel_hi:[1,0,1]
	v_pk_fma_f32 v[12:13], v[34:35], 2.0, v[28:29] op_sel_hi:[1,0,1]
	s_and_saveexec_b64 s[22:23], s[8:9]
	s_cbranch_execz .LBB0_7
; %bb.6:
	v_pk_add_f32 v[36:37], v[16:17], v[18:19]
	v_lshlrev_b32_e32 v12, 3, v118
	v_pk_add_f32 v[40:41], v[36:37], v[20:21]
	v_mov_b32_e32 v34, v31
	v_pk_add_f32 v[4:5], v[40:41], v[4:5]
	v_mov_b32_e32 v35, v30
	;; [unrolled: 2-line block ×3, first 2 shown]
	v_pk_add_f32 v[4:5], v[0:1], v[4:5]
	ds_write2_b64 v12, v[4:5], v[32:33] offset1:1
	v_mov_b32_e32 v4, v25
	v_mov_b32_e32 v5, v22
	v_pk_add_f32 v[4:5], v[4:5], v[2:3]
	v_mov_b32_e32 v7, v24
	v_pk_add_f32 v[4:5], v[4:5], v[6:7] neg_lo:[0,1] neg_hi:[0,1]
	v_pk_mul_f32 v[30:31], v[20:21], 0.5 op_sel_hi:[1,0]
	v_pk_mul_f32 v[4:5], v[4:5], s[20:21] op_sel_hi:[1,0]
	s_mov_b32 s20, s1
	v_pk_add_f32 v[6:7], v[0:1], v[20:21]
	v_pk_add_f32 v[20:21], v[36:37], v[8:9]
	s_mov_b32 s0, 0xbf248dbb
	v_pk_mul_f32 v[2:3], v[2:3], s[20:21] op_sel_hi:[1,0]
	v_pk_fma_f32 v[0:1], v[18:19], s[12:13], v[0:1] op_sel_hi:[1,0,1]
	v_pk_fma_f32 v[6:7], -0.5, v[20:21], v[6:7] op_sel_hi:[0,1,1]
	v_pk_fma_f32 v[2:3], v[26:27], s[0:1], v[2:3] op_sel:[0,0,1] op_sel_hi:[1,0,0] neg_lo:[0,0,1] neg_hi:[0,0,1]
	v_pk_fma_f32 v[0:1], v[8:9], s[14:15], v[0:1] op_sel_hi:[1,0,1]
	v_pk_add_f32 v[20:21], v[6:7], v[4:5] op_sel:[0,1] op_sel_hi:[1,0]
	v_pk_add_f32 v[6:7], v[6:7], v[4:5] op_sel:[0,1] op_sel_hi:[1,0] neg_lo:[0,1] neg_hi:[0,1]
	v_pk_add_f32 v[2:3], v[34:35], v[2:3]
	v_pk_add_f32 v[0:1], v[0:1], v[30:31] neg_lo:[0,1] neg_hi:[0,1]
	s_mov_b32 s0, 0xbf708fb2
	v_mov_b32_e32 v6, v20
	v_pk_fma_f32 v[2:3], v[10:11], s[6:7], v[2:3] op_sel_hi:[1,0,1]
	v_pk_fma_f32 v[0:1], v[16:17], s[0:1], v[0:1] op_sel_hi:[1,0,1]
	v_mov_b32_e32 v21, v7
	ds_write2_b64 v12, v[28:29], v[6:7] offset0:2 offset1:3
	v_pk_add_f32 v[6:7], v[0:1], v[2:3]
	v_pk_add_f32 v[0:1], v[0:1], v[2:3] neg_lo:[0,1] neg_hi:[0,1]
	v_pk_fma_f32 v[8:9], v[4:5], 2.0, v[20:21] op_sel:[1,0,0] op_sel_hi:[0,0,1] neg_lo:[1,0,0] neg_hi:[1,0,0]
	v_mov_b32_e32 v7, v1
	v_pk_fma_f32 v[0:1], v[2:3], 2.0, v[6:7] op_sel_hi:[1,0,1] neg_lo:[1,0,0] neg_hi:[1,0,0]
	v_pk_fma_f32 v[2:3], v[2:3], 2.0, v[6:7] op_sel_hi:[1,0,1]
	v_pk_fma_f32 v[4:5], v[4:5], 2.0, v[20:21] op_sel:[1,0,0] op_sel_hi:[0,0,1]
	v_mov_b32_e32 v1, v3
	v_mov_b32_e32 v9, v5
	;; [unrolled: 1-line block ×4, first 2 shown]
	ds_write_b64 v12, v[6:7] offset:32
	ds_write2_b64 v12, v[0:1], v[8:9] offset0:5 offset1:6
	ds_write2_b64 v12, v[44:45], v[38:39] offset0:7 offset1:8
.LBB0_7:
	s_or_b64 exec, exec, s[22:23]
	v_mov_b32_e32 v0, 57
	v_mul_lo_u16_sdwa v0, v63, v0 dst_sel:DWORD dst_unused:UNUSED_PAD src0_sel:BYTE_0 src1_sel:DWORD
	v_lshrrev_b16_e32 v14, 9, v0
	v_mul_lo_u16_e32 v0, 9, v14
	v_sub_u16_e32 v0, v63, v0
	v_and_b32_e32 v39, 0xff, v0
	v_mul_u32_u24_e32 v0, 6, v39
	v_lshlrev_b32_e32 v12, 3, v0
	s_load_dwordx4 s[12:15], s[4:5], 0x0
	s_waitcnt lgkmcnt(0)
	s_barrier
	global_load_dwordx4 v[8:11], v12, s[10:11] offset:16
	global_load_dwordx4 v[4:7], v12, s[10:11]
	global_load_dwordx4 v[0:3], v12, s[10:11] offset:32
	v_add_u32_e32 v12, 0x400, v60
	v_add_u32_e32 v20, 0xc00, v60
	ds_read2_b64 v[16:19], v12 offset0:106 offset1:223
	ds_read2_b64 v[20:23], v20 offset0:84 offset1:201
	ds_read2_b64 v[24:27], v60 offset1:117
	ds_read_b64 v[28:29], v60 offset:5616
	s_mov_b32 s0, 0x3d64c772
	s_waitcnt lgkmcnt(3)
	v_mov_b32_e32 v30, v17
	s_waitcnt lgkmcnt(2)
	v_mov_b32_e32 v31, v20
	v_mov_b32_e32 v32, v23
	;; [unrolled: 1-line block ×3, first 2 shown]
	s_mov_b32 s6, 0x3f4a47b2
	s_mov_b32 s7, 0x3eae86e6
	;; [unrolled: 1-line block ×4, first 2 shown]
	s_waitcnt lgkmcnt(0)
	s_barrier
	s_waitcnt lgkmcnt(0)
                                        ; implicit-def: $vgpr68
	s_waitcnt vmcnt(2)
	v_mul_f32_e32 v35, v19, v8
	v_mul_f32_e32 v37, v18, v9
	;; [unrolled: 1-line block ×4, first 2 shown]
	s_waitcnt vmcnt(1)
	v_mul_f32_e32 v34, v17, v7
	s_waitcnt vmcnt(0)
	v_mul_f32_e32 v36, v23, v1
	v_mov_b32_e32 v17, v21
	v_mov_b32_e32 v20, v7
	;; [unrolled: 1-line block ×6, first 2 shown]
	v_pk_mul_f32 v[46:47], v[26:27], v[4:5] op_sel_hi:[1,0]
	v_pk_mul_f32 v[48:49], v[28:29], v[2:3] op_sel_hi:[1,0]
	v_mov_b32_e32 v12, v3
	v_mov_b32_e32 v50, v6
	;; [unrolled: 1-line block ×5, first 2 shown]
	v_fma_f32 v34, v16, v6, -v34
	v_pk_mul_f32 v[16:17], v[16:17], v[20:21]
	v_pk_mul_f32 v[18:19], v[22:23], v[18:19]
	v_pk_fma_f32 v[54:55], v[28:29], v[12:13], v[48:49] op_sel:[0,0,1] op_sel_hi:[1,0,0]
	v_pk_fma_f32 v[28:29], v[28:29], v[12:13], v[48:49] op_sel:[0,0,1] op_sel_hi:[1,0,0] neg_lo:[1,0,0] neg_hi:[1,0,0]
	v_pk_fma_f32 v[48:49], v[26:27], v[4:5], v[46:47] op_sel:[0,1,1] op_sel_hi:[1,1,0]
	v_pk_fma_f32 v[26:27], v[26:27], v[4:5], v[46:47] op_sel:[0,1,1] op_sel_hi:[1,1,0] neg_lo:[1,0,0] neg_hi:[1,0,0]
	v_pk_fma_f32 v[46:47], v[30:31], v[6:7], v[16:17]
	v_pk_fma_f32 v[16:17], v[30:31], v[50:51], v[16:17] neg_lo:[0,0,1] neg_hi:[0,0,1]
	v_pk_fma_f32 v[30:31], v[32:33], v[0:1], v[18:19]
	v_pk_fma_f32 v[18:19], v[32:33], v[52:53], v[18:19] neg_lo:[0,0,1] neg_hi:[0,0,1]
	v_mov_b32_e32 v26, v48
	v_mov_b32_e32 v28, v54
	;; [unrolled: 1-line block ×6, first 2 shown]
	v_fma_f32 v36, v22, v0, -v36
	v_pk_add_f32 v[22:23], v[48:49], v[54:55]
	v_pk_add_f32 v[26:27], v[26:27], v[28:29] neg_lo:[0,1] neg_hi:[0,1]
	v_pk_add_f32 v[28:29], v[40:41], v[42:43]
	v_pk_add_f32 v[40:41], v[46:47], v[30:31]
	;; [unrolled: 1-line block ×3, first 2 shown]
	v_mov_b32_e32 v16, v19
	v_mov_b32_e32 v18, v17
	;; [unrolled: 1-line block ×7, first 2 shown]
	v_pk_add_f32 v[36:37], v[20:21], v[28:29]
	v_pk_add_f32 v[30:31], v[46:47], v[30:31] neg_lo:[0,1] neg_hi:[0,1]
	v_mov_b32_e32 v32, v29
	v_pk_add_f32 v[16:17], v[16:17], v[18:19]
	v_mov_b32_e32 v23, v27
	v_mov_b32_e32 v29, v22
	v_pk_add_f32 v[32:33], v[32:33], v[34:35] neg_lo:[0,1] neg_hi:[0,1]
	v_mov_b32_e32 v21, v40
	v_mov_b32_e32 v40, v37
	;; [unrolled: 1-line block ×7, first 2 shown]
	v_pk_add_f32 v[18:19], v[20:21], v[28:29] neg_lo:[0,1] neg_hi:[0,1]
	v_pk_add_f32 v[22:23], v[22:23], v[40:41] neg_lo:[0,1] neg_hi:[0,1]
	v_pk_add_f32 v[40:41], v[30:31], v[32:33]
	v_mov_b32_e32 v33, v31
	v_pk_add_f32 v[20:21], v[42:43], v[20:21] neg_lo:[0,1] neg_hi:[0,1]
	v_sub_f32_e32 v12, v28, v16
	v_pk_add_f32 v[28:29], v[32:33], v[34:35] neg_lo:[0,1] neg_hi:[0,1]
	v_pk_add_f32 v[16:17], v[36:37], v[16:17]
	v_pk_mul_f32 v[20:21], v[20:21], s[0:1] op_sel_hi:[1,0]
	s_mov_b32 s0, 0x3f3bfb3b
	v_sub_f32_e32 v45, v26, v32
	v_pk_add_f32 v[30:31], v[34:35], v[26:27] neg_lo:[0,1] neg_hi:[0,1]
	v_pk_add_f32 v[26:27], v[40:41], v[26:27]
	v_pk_add_f32 v[40:41], v[24:25], v[16:17]
	v_pk_mul_f32 v[24:25], v[18:19], s[0:1] op_sel_hi:[1,0]
	v_pk_mul_f32 v[34:35], v[22:23], s[6:7]
	v_pk_mul_f32 v[28:29], v[28:29], s[20:21] op_sel_hi:[1,0]
	v_pk_fma_f32 v[18:19], v[18:19], s[0:1], v[20:21] op_sel_hi:[1,0,1] neg_lo:[0,0,1] neg_hi:[0,0,1]
	s_mov_b32 s0, 0xbf4a47b2
	v_mul_f32_e32 v17, 0x3f955555, v17
	s_mov_b32 s20, 0x3f5ff5aa
	v_fmamk_f32 v42, v16, 0xbf955555, v40
	v_fmamk_f32 v47, v12, 0x3f4a47b2, v20
	v_fma_f32 v46, v12, s0, -v24
	v_mov_b32_e32 v12, v29
	v_mov_b32_e32 v16, v35
	v_pk_mul_f32 v[32:33], v[26:27], s[4:5] op_sel_hi:[1,0]
	v_pk_mul_f32 v[36:37], v[30:31], s[20:21] op_sel_hi:[1,0]
	v_sub_f32_e64 v25, -v34, v25
	v_pk_add_f32 v[34:35], v[12:13], v[16:17]
	v_pk_add_f32 v[16:17], v[40:41], v[16:17] neg_lo:[0,1] neg_hi:[0,1]
	v_mov_b32_e32 v12, v21
	v_mov_b32_e32 v35, v17
	v_pk_fma_f32 v[30:31], v[30:31], s[20:21], v[28:29] op_sel_hi:[1,0,1] neg_lo:[0,0,1] neg_hi:[0,0,1]
	v_pk_fma_f32 v[20:21], v[22:23], s[6:7], v[12:13]
	v_pk_fma_f32 v[22:23], v[22:23], s[6:7], v[36:37] neg_lo:[1,0,1] neg_hi:[1,0,1]
	v_mov_b32_e32 v24, v33
	v_fmac_f32_e32 v28, 0x3eae86e6, v45
	v_mov_b32_e32 v21, v23
	s_mov_b32 s0, 0xbeae86e6
	v_pk_add_f32 v[22:23], v[24:25], v[34:35]
	v_pk_fma_f32 v[24:25], v[26:27], s[4:5], v[30:31] op_sel_hi:[1,0,1]
	v_mov_b32_e32 v26, v17
	v_mov_b32_e32 v27, v33
	v_fma_f32 v16, v45, s0, -v36
	v_mov_b32_e32 v43, v17
	v_pk_add_f32 v[20:21], v[20:21], v[26:27]
	v_mov_b32_e32 v17, v28
	v_pk_add_f32 v[26:27], v[46:47], v[42:43] op_sel_hi:[1,0]
	v_pk_add_f32 v[16:17], v[32:33], v[16:17] op_sel_hi:[0,1]
	v_mov_b32_e32 v28, v23
	v_mov_b32_e32 v29, v20
	;; [unrolled: 1-line block ×4, first 2 shown]
	v_pk_add_f32 v[18:19], v[18:19], v[42:43]
	v_pk_add_f32 v[56:57], v[16:17], v[26:27]
	v_pk_add_f32 v[42:43], v[28:29], v[30:31] neg_lo:[0,1] neg_hi:[0,1]
	v_mul_u32_u24_e32 v12, 63, v14
	v_pk_add_f32 v[58:59], v[24:25], v[18:19]
	v_pk_add_f32 v[36:37], v[18:19], v[24:25] neg_lo:[0,1] neg_hi:[0,1]
	v_pk_add_f32 v[46:47], v[26:27], v[16:17] neg_lo:[0,1] neg_hi:[0,1]
	v_add_lshl_u32 v119, v12, v39, 3
	v_mov_b32_e32 v16, v57
	v_mov_b32_e32 v17, v43
	v_pk_add_f32 v[64:65], v[20:21], v[22:23]
	ds_write2_b64 v119, v[40:41], v[16:17] offset1:9
	v_mov_b32_e32 v16, v56
	v_mov_b32_e32 v17, v42
	;; [unrolled: 1-line block ×4, first 2 shown]
	ds_write2_b64 v119, v[16:17], v[18:19] offset0:18 offset1:27
	v_mov_b32_e32 v16, v58
	v_mov_b32_e32 v17, v37
	;; [unrolled: 1-line block ×4, first 2 shown]
	ds_write2_b64 v119, v[16:17], v[18:19] offset0:36 offset1:45
	v_mov_b32_e32 v16, v47
	v_mov_b32_e32 v17, v64
	v_cmp_gt_u16_e64 s[4:5], 63, v63
	v_cmp_lt_u16_e64 s[6:7], 62, v63
	ds_write_b64 v119, v[16:17] offset:432
	s_waitcnt lgkmcnt(0)
	s_barrier
	s_waitcnt lgkmcnt(0)
                                        ; implicit-def: $vgpr48
	s_and_saveexec_b64 s[0:1], s[6:7]
	s_xor_b64 s[0:1], exec, s[0:1]
; %bb.8:
	v_mov_b32_e32 v48, v15
	v_mov_b32_e32 v68, v13
; %bb.9:
	s_or_saveexec_b64 s[0:1], s[0:1]
                                        ; implicit-def: $vgpr50
                                        ; implicit-def: $vgpr70
                                        ; implicit-def: $vgpr52
                                        ; implicit-def: $vgpr74
                                        ; implicit-def: $vgpr76
                                        ; implicit-def: $vgpr66
                                        ; implicit-def: $vgpr72
	s_xor_b64 exec, exec, s[0:1]
	s_cbranch_execz .LBB0_11
; %bb.10:
	v_add_u32_e32 v12, 0x400, v60
	v_add_u32_e32 v16, 0xc00, v60
	ds_read2_b64 v[40:43], v60 offset1:63
	ds_read2_b64 v[34:37], v60 offset0:126 offset1:189
	ds_read2_b64 v[44:47], v12 offset0:124 offset1:187
	v_add_u32_e32 v12, 0x800, v60
	ds_read2_b64 v[48:51], v16 offset0:120 offset1:183
	v_add_u32_e32 v16, 0x1000, v60
	ds_read2_b64 v[12:15], v12 offset0:122 offset1:185
	ds_read2_b64 v[52:55], v16 offset0:118 offset1:181
	ds_read_b64 v[66:67], v60 offset:6048
	s_waitcnt lgkmcnt(4)
	v_mov_b32_e32 v65, v47
	v_mov_b32_e32 v58, v44
	;; [unrolled: 1-line block ×3, first 2 shown]
	s_waitcnt lgkmcnt(2)
	v_mov_b32_e32 v64, v13
	v_mov_b32_e32 v56, v34
	;; [unrolled: 1-line block ×11, first 2 shown]
	s_waitcnt lgkmcnt(1)
	v_mov_b32_e32 v74, v53
	v_mov_b32_e32 v76, v55
	s_waitcnt lgkmcnt(0)
	v_mov_b32_e32 v72, v67
.LBB0_11:
	s_or_b64 exec, exec, s[0:1]
	v_subrev_u32_e32 v12, 63, v63
	v_cndmask_b32_e64 v12, v12, v63, s[4:5]
	v_mul_hi_i32_i24_e32 v13, 0x60, v12
	v_mul_i32_i24_e32 v12, 0x60, v12
	v_lshl_add_u64 v[78:79], s[10:11], 0, v[12:13]
	global_load_dwordx4 v[12:15], v[78:79], off offset:464
	global_load_dwordx4 v[16:19], v[78:79], off offset:496
	;; [unrolled: 1-line block ×6, first 2 shown]
	s_mov_b32 s0, 0xbf788fa5
	s_mov_b32 s1, 0xbf29c268
	;; [unrolled: 1-line block ×27, first 2 shown]
	s_waitcnt vmcnt(5)
	v_pk_mul_f32 v[78:79], v[64:65], v[12:13] op_sel:[1,0]
	v_pk_mul_f32 v[64:65], v[64:65], v[14:15] op_sel_hi:[0,1]
	s_waitcnt vmcnt(4)
	v_pk_mul_f32 v[80:81], v[70:71], v[16:17] op_sel_hi:[0,1]
	v_pk_mul_f32 v[82:83], v[74:75], v[18:19] op_sel_hi:[0,1]
	s_waitcnt vmcnt(3)
	v_pk_mul_f32 v[84:85], v[76:77], v[28:29] op_sel_hi:[0,1]
	s_waitcnt vmcnt(2)
	v_pk_mul_f32 v[86:87], v[58:59], v[20:21] op_sel:[1,0]
	v_pk_mul_f32 v[88:89], v[36:37], v[22:23] op_sel:[1,0]
	s_waitcnt vmcnt(1)
	v_pk_mul_f32 v[90:91], v[42:43], v[24:25] op_sel:[1,0]
	v_pk_mul_f32 v[42:43], v[42:43], v[26:27] op_sel_hi:[0,1]
	s_waitcnt vmcnt(0)
	v_pk_mul_f32 v[68:69], v[68:69], v[32:33] op_sel_hi:[0,1]
	v_pk_mul_f32 v[48:49], v[48:49], v[34:35] op_sel_hi:[0,1]
	;; [unrolled: 1-line block ×3, first 2 shown]
	v_pk_fma_f32 v[72:73], v[46:47], v[12:13], v[78:79] op_sel:[0,0,1] op_sel_hi:[1,1,0] neg_lo:[0,0,1] neg_hi:[0,0,1]
	v_pk_fma_f32 v[94:95], v[46:47], v[12:13], v[78:79] op_sel:[0,0,1] op_sel_hi:[0,1,0]
	v_pk_fma_f32 v[76:77], v[46:47], v[14:15], v[64:65] op_sel:[1,0,1] op_sel_hi:[1,1,0] neg_lo:[0,0,1] neg_hi:[0,0,1]
	v_pk_fma_f32 v[46:47], v[46:47], v[14:15], v[64:65] op_sel:[1,0,1] op_sel_hi:[1,1,0]
	;; [unrolled: 2-line block ×12, first 2 shown]
	v_mov_b32_e32 v111, v87
	v_mov_b32_e32 v45, v49
	;; [unrolled: 1-line block ×6, first 2 shown]
	v_pk_add_f32 v[120:121], v[110:111], v[44:45] neg_lo:[0,1] neg_hi:[0,1]
	v_pk_add_f32 v[116:117], v[110:111], v[44:45]
	v_pk_add_f32 v[122:123], v[114:115], v[78:79] neg_lo:[0,1] neg_hi:[0,1]
	v_pk_add_f32 v[124:125], v[64:65], v[74:75] neg_lo:[0,1] neg_hi:[0,1]
	v_pk_mul_f32 v[126:127], v[120:121], s[26:27] op_sel:[1,0] op_sel_hi:[0,0]
	v_mov_b32_e32 v85, v57
	v_mov_b32_e32 v83, v39
	;; [unrolled: 1-line block ×3, first 2 shown]
	v_pk_add_f32 v[102:103], v[114:115], v[78:79]
	v_pk_add_f32 v[50:51], v[64:65], v[74:75]
	v_pk_mul_f32 v[108:109], v[122:123], s[24:25] op_sel:[1,0] op_sel_hi:[0,0]
	v_pk_mul_f32 v[54:55], v[124:125], s[10:11] op_sel:[1,0] op_sel_hi:[0,0]
	v_pk_fma_f32 v[36:37], v[116:117], s[22:23], v[126:127] op_sel_hi:[1,0,1]
	v_pk_fma_f32 v[38:39], v[116:117], s[22:23], v[126:127] op_sel_hi:[1,0,1] neg_lo:[0,0,1] neg_hi:[0,0,1]
	v_mov_b32_e32 v77, v47
	v_pk_add_f32 v[88:89], v[84:85], v[70:71] neg_lo:[0,1] neg_hi:[0,1]
	v_pk_fma_f32 v[42:43], v[102:103], s[20:21], v[108:109] op_sel_hi:[1,0,1]
	v_pk_fma_f32 v[46:47], v[102:103], s[20:21], v[108:109] op_sel_hi:[1,0,1] neg_lo:[0,0,1] neg_hi:[0,0,1]
	v_pk_fma_f32 v[52:53], v[50:51], s[0:1], v[54:55] op_sel_hi:[1,0,1]
	v_pk_fma_f32 v[56:57], v[50:51], s[0:1], v[54:55] op_sel_hi:[1,0,1] neg_lo:[0,0,1] neg_hi:[0,0,1]
	v_mov_b32_e32 v37, v39
	v_mov_b32_e32 v73, v95
	v_pk_add_f32 v[48:49], v[84:85], v[70:71]
	v_mov_b32_e32 v43, v47
	v_mov_b32_e32 v53, v57
	v_pk_add_f32 v[36:37], v[40:41], v[36:37]
	v_pk_mul_f32 v[56:57], v[88:89], s[38:39] op_sel:[1,0] op_sel_hi:[0,0]
	v_pk_add_f32 v[36:37], v[42:43], v[36:37]
	v_pk_fma_f32 v[38:39], v[48:49], s[30:31], v[56:57] op_sel_hi:[1,0,1]
	v_pk_fma_f32 v[42:43], v[48:49], s[30:31], v[56:57] op_sel_hi:[1,0,1] neg_lo:[0,0,1] neg_hi:[0,0,1]
	v_pk_add_f32 v[86:87], v[72:73], v[82:83] neg_lo:[0,1] neg_hi:[0,1]
	v_mov_b32_e32 v81, v59
	v_pk_add_f32 v[36:37], v[52:53], v[36:37]
	v_mov_b32_e32 v39, v43
	v_pk_add_f32 v[58:59], v[72:73], v[82:83]
	v_pk_mul_f32 v[66:67], v[86:87], s[40:41] op_sel:[1,0] op_sel_hi:[0,0]
	v_pk_add_f32 v[36:37], v[38:39], v[36:37]
	v_pk_fma_f32 v[38:39], v[58:59], s[36:37], v[66:67] op_sel_hi:[1,0,1]
	v_pk_fma_f32 v[42:43], v[58:59], s[36:37], v[66:67] op_sel_hi:[1,0,1] neg_lo:[0,0,1] neg_hi:[0,0,1]
	v_pk_add_f32 v[46:47], v[76:77], v[80:81] neg_lo:[0,1] neg_hi:[0,1]
	v_mov_b32_e32 v39, v43
	v_pk_add_f32 v[42:43], v[76:77], v[80:81]
	v_pk_mul_f32 v[68:69], v[46:47], s[34:35] op_sel:[1,0] op_sel_hi:[0,0]
	v_pk_add_f32 v[36:37], v[38:39], v[36:37]
	v_pk_fma_f32 v[38:39], v[42:43], s[28:29], v[68:69] op_sel_hi:[1,0,1]
	v_pk_fma_f32 v[52:53], v[42:43], s[28:29], v[68:69] op_sel_hi:[1,0,1] neg_lo:[0,0,1] neg_hi:[0,0,1]
	s_mov_b32 s40, 0xbf7e222b
	v_mov_b32_e32 v39, v53
	v_pk_mul_f32 v[52:53], v[120:121], s[40:41] op_sel:[1,0] op_sel_hi:[0,0]
	v_pk_fma_f32 v[128:129], v[116:117], s[36:37], v[52:53] op_sel_hi:[1,0,1] neg_lo:[0,0,1] neg_hi:[0,0,1]
	v_pk_fma_f32 v[52:53], v[116:117], s[36:37], v[52:53] op_sel_hi:[1,0,1]
	v_pk_mul_f32 v[92:93], v[102:103], s[0:1] op_sel_hi:[1,0]
	v_mov_b32_e32 v131, v53
	v_mov_b32_e32 v53, v129
	v_pk_fma_f32 v[90:91], v[122:123], s[10:11], v[92:93] op_sel:[1,0,0] op_sel_hi:[0,0,1] neg_lo:[1,0,0] neg_hi:[1,0,0]
	v_pk_fma_f32 v[92:93], v[122:123], s[10:11], v[92:93] op_sel:[1,0,0] op_sel_hi:[0,0,1]
	v_pk_add_f32 v[52:53], v[40:41], v[52:53]
	v_mov_b32_e32 v94, v92
	v_mov_b32_e32 v95, v91
	v_pk_mul_f32 v[96:97], v[50:51], s[20:21] op_sel_hi:[1,0]
	v_pk_add_f32 v[52:53], v[94:95], v[52:53]
	v_pk_fma_f32 v[94:95], v[124:125], s[42:43], v[96:97] op_sel:[1,0,0] op_sel_hi:[0,0,1] neg_lo:[1,0,0] neg_hi:[1,0,0]
	v_pk_fma_f32 v[96:97], v[124:125], s[42:43], v[96:97] op_sel:[1,0,0] op_sel_hi:[0,0,1]
	v_mov_b32_e32 v98, v96
	v_mov_b32_e32 v99, v95
	v_pk_mul_f32 v[100:101], v[88:89], s[34:35] op_sel:[1,0] op_sel_hi:[0,0]
	v_pk_add_f32 v[52:53], v[98:99], v[52:53]
	v_pk_fma_f32 v[98:99], v[48:49], s[28:29], v[100:101] op_sel_hi:[1,0,1]
	v_pk_fma_f32 v[100:101], v[48:49], s[28:29], v[100:101] op_sel_hi:[1,0,1] neg_lo:[0,0,1] neg_hi:[0,0,1]
	v_mov_b32_e32 v104, v98
	v_mov_b32_e32 v105, v101
	v_pk_mul_f32 v[106:107], v[86:87], s[26:27] op_sel:[1,0] op_sel_hi:[0,0]
	v_pk_add_f32 v[52:53], v[104:105], v[52:53]
	v_pk_fma_f32 v[104:105], v[58:59], s[22:23], v[106:107] op_sel_hi:[1,0,1]
	v_pk_fma_f32 v[106:107], v[58:59], s[22:23], v[106:107] op_sel_hi:[1,0,1] neg_lo:[0,0,1] neg_hi:[0,0,1]
	s_mov_b32 s42, s1
	v_mov_b32_e32 v112, v104
	v_mov_b32_e32 v113, v107
	v_pk_add_f32 v[38:39], v[38:39], v[36:37]
	v_pk_mul_f32 v[36:37], v[46:47], s[42:43] op_sel:[1,0] op_sel_hi:[0,0]
	v_pk_add_f32 v[132:133], v[112:113], v[52:53]
	v_pk_fma_f32 v[112:113], v[42:43], s[30:31], v[36:37] op_sel_hi:[1,0,1]
	v_pk_fma_f32 v[52:53], v[42:43], s[30:31], v[36:37] op_sel_hi:[1,0,1] neg_lo:[0,0,1] neg_hi:[0,0,1]
	v_pk_add_f32 v[110:111], v[40:41], v[110:111]
	v_mov_b32_e32 v36, v112
	v_mov_b32_e32 v37, v53
	v_pk_add_f32 v[110:111], v[110:111], v[114:115]
	v_pk_add_f32 v[36:37], v[36:37], v[132:133]
	;; [unrolled: 1-line block ×3, first 2 shown]
	v_mov_b32_e32 v110, v120
	v_mov_b32_e32 v111, v117
	v_mov_b32_e32 v64, v117
	v_mov_b32_e32 v65, v120
	v_pk_mul_f32 v[110:111], v[110:111], s[10:11]
	v_pk_mul_f32 v[136:137], v[102:103], s[48:49] op_sel_hi:[0,1]
	v_pk_fma_f32 v[114:115], v[64:65], s[0:1], v[110:111] neg_lo:[1,0,0] neg_hi:[1,0,0]
	v_pk_fma_f32 v[134:135], v[64:65], s[0:1], v[110:111]
	v_pk_fma_f32 v[64:65], v[64:65], s[0:1], v[110:111] neg_lo:[0,0,1] neg_hi:[0,0,1]
	v_pk_mul_f32 v[110:111], v[116:117], s[44:45] op_sel_hi:[0,1]
	v_pk_mul_f32 v[138:139], v[120:121], s[46:47] op_sel:[1,0]
	v_pk_mul_f32 v[140:141], v[122:123], s[50:51] op_sel:[1,0]
	v_mov_b32_e32 v111, v110
	v_mov_b32_e32 v110, v136
	;; [unrolled: 1-line block ×4, first 2 shown]
	s_mov_b32 s46, 0xbeedf032
	v_pk_add_f32 v[110:111], v[110:111], v[142:143] neg_lo:[0,1] neg_hi:[0,1]
	v_pk_mul_f32 v[142:143], v[120:121], s[24:25] op_sel:[1,0] op_sel_hi:[0,0]
	v_pk_mul_f32 v[120:121], v[120:121], s[46:47] op_sel:[1,0] op_sel_hi:[0,0]
	v_pk_fma_f32 v[144:145], v[116:117], s[20:21], v[142:143] op_sel_hi:[1,0,1] neg_lo:[0,0,1] neg_hi:[0,0,1]
	v_pk_fma_f32 v[146:147], v[116:117], s[20:21], v[142:143] op_sel_hi:[1,0,1]
	v_pk_fma_f32 v[148:149], v[116:117], s[28:29], v[120:121] op_sel_hi:[1,0,1]
	v_pk_fma_f32 v[150:151], v[116:117], s[28:29], v[120:121] op_sel_hi:[1,0,1] neg_lo:[0,0,1] neg_hi:[0,0,1]
	v_mov_b32_e32 v147, v145
	v_mov_b32_e32 v150, v148
	;; [unrolled: 1-line block ×3, first 2 shown]
	v_pk_mul_f32 v[148:149], v[116:117], s[20:21] op_sel_hi:[1,0]
	v_pk_mul_f32 v[152:153], v[116:117], s[22:23] op_sel_hi:[1,0]
	v_mov_b32_e32 v142, v127
	v_mov_b32_e32 v148, v153
	v_pk_add_f32 v[142:143], v[142:143], v[148:149]
	v_pk_fma_f32 v[148:149], v[116:117], s[44:45], v[138:139] op_sel_hi:[0,1,1] neg_lo:[0,0,1] neg_hi:[0,0,1]
	v_pk_fma_f32 v[138:139], v[116:117], s[44:45], v[138:139] op_sel_hi:[0,1,1]
	v_pk_mul_f32 v[116:117], v[116:117], s[28:29] op_sel_hi:[1,0]
	v_mov_b32_e32 v121, v126
	v_mov_b32_e32 v117, v152
	;; [unrolled: 1-line block ×3, first 2 shown]
	v_pk_add_f32 v[120:121], v[116:117], v[120:121] neg_lo:[0,1] neg_hi:[0,1]
	v_mov_b32_e32 v130, v128
	v_pk_add_f32 v[128:129], v[40:41], v[64:65] op_sel:[1,0]
	v_mov_b32_e32 v64, v149
	v_mov_b32_e32 v92, v111
	v_pk_add_f32 v[126:127], v[40:41], v[146:147]
	v_pk_add_f32 v[114:115], v[40:41], v[114:115]
	;; [unrolled: 1-line block ×3, first 2 shown]
	v_pk_add_f32 v[138:139], v[40:41], v[138:139] op_sel_hi:[0,1]
	v_pk_add_f32 v[146:147], v[40:41], v[92:93]
	v_pk_add_f32 v[148:149], v[40:41], v[150:151]
	;; [unrolled: 1-line block ×3, first 2 shown]
	v_pk_add_f32 v[116:117], v[40:41], v[142:143] op_sel:[1,0]
	v_pk_add_f32 v[120:121], v[40:41], v[120:121] op_sel_hi:[0,1]
	v_pk_add_f32 v[130:131], v[40:41], v[130:131]
	v_mov_b32_e32 v40, v41
	v_pk_mul_f32 v[142:143], v[122:123], s[38:39] op_sel:[1,0] op_sel_hi:[0,0]
	v_pk_add_f32 v[134:135], v[40:41], v[134:135]
	v_pk_fma_f32 v[150:151], v[102:103], s[30:31], v[142:143] op_sel_hi:[1,0,1] neg_lo:[0,0,1] neg_hi:[0,0,1]
	v_pk_fma_f32 v[40:41], v[102:103], s[30:31], v[142:143] op_sel_hi:[1,0,1]
	v_mov_b32_e32 v152, v103
	v_mov_b32_e32 v41, v151
	v_pk_add_f32 v[126:127], v[40:41], v[126:127]
	v_mov_b32_e32 v40, v122
	v_mov_b32_e32 v41, v103
	;; [unrolled: 1-line block ×3, first 2 shown]
	v_pk_mul_f32 v[154:155], v[40:41], s[34:35]
	v_pk_add_f32 v[110:111], v[110:111], v[146:147]
	v_pk_fma_f32 v[156:157], v[152:153], s[28:29], v[154:155] neg_lo:[0,0,1] neg_hi:[0,0,1]
	v_pk_fma_f32 v[40:41], v[152:153], s[28:29], v[154:155]
	v_pk_fma_f32 v[146:147], v[102:103], s[48:49], v[140:141] op_sel_hi:[0,1,1]
	v_mov_b32_e32 v157, v41
	v_pk_mul_f32 v[40:41], v[124:125], s[34:35] op_sel:[1,0] op_sel_hi:[0,0]
	v_pk_fma_f32 v[158:159], v[50:51], s[28:29], v[40:41] op_sel_hi:[1,0,1] neg_lo:[0,0,1] neg_hi:[0,0,1]
	v_pk_fma_f32 v[160:161], v[50:51], s[28:29], v[40:41] op_sel_hi:[1,0,1]
	v_pk_add_f32 v[138:139], v[146:147], v[138:139]
	v_mov_b32_e32 v161, v159
	v_pk_add_f32 v[126:127], v[160:161], v[126:127]
	v_pk_mul_f32 v[146:147], v[50:51], s[22:23] op_sel_hi:[0,1]
	v_pk_mul_f32 v[160:161], v[124:125], s[26:27] op_sel:[1,0]
	v_mov_b32_e32 v136, v147
	v_mov_b32_e32 v140, v161
	v_pk_add_f32 v[136:137], v[136:137], v[140:141] neg_lo:[0,1] neg_hi:[0,1]
	v_mov_b32_e32 v140, v51
	v_mov_b32_e32 v40, v137
	v_pk_add_f32 v[64:65], v[40:41], v[64:65]
	v_mov_b32_e32 v141, v124
	v_pk_add_f32 v[136:137], v[136:137], v[64:65]
	v_pk_fma_f32 v[64:65], v[50:51], s[22:23], v[160:161] op_sel_hi:[0,1,1]
	v_pk_add_f32 v[138:139], v[64:65], v[138:139]
	v_pk_mul_f32 v[64:65], v[152:153], s[28:29]
	s_mov_b32 s38, s11
	s_mov_b32 s39, s26
	v_mov_b32_e32 v152, v124
	v_mov_b32_e32 v153, v51
	s_mov_b32 s44, s1
	s_mov_b32 s45, s22
	v_pk_mul_f32 v[152:153], v[152:153], s[44:45]
	v_pk_mul_f32 v[164:165], v[140:141], s[38:39]
	v_mov_b32_e32 v162, v153
	v_mov_b32_e32 v163, v155
	v_mov_b32_e32 v166, v165
	v_mov_b32_e32 v167, v65
	v_pk_add_f32 v[162:163], v[162:163], v[166:167] neg_lo:[0,1] neg_hi:[0,1]
	v_mov_b32_e32 v165, v64
	v_pk_add_f32 v[114:115], v[162:163], v[114:115]
	v_mov_b32_e32 v65, v154
	v_mov_b32_e32 v64, v152
	;; [unrolled: 1-line block ×3, first 2 shown]
	v_pk_add_f32 v[64:65], v[64:65], v[164:165]
	v_pk_add_f32 v[114:115], v[162:163], v[40:41]
	v_mov_b32_e32 v40, v65
	v_pk_add_f32 v[134:135], v[40:41], v[134:135]
	v_pk_fma_f32 v[154:155], v[140:141], s[38:39], v[152:153] neg_lo:[0,0,1] neg_hi:[0,0,1]
	v_pk_add_f32 v[134:135], v[64:65], v[134:135]
	v_pk_fma_f32 v[64:65], v[140:141], s[38:39], v[152:153]
	v_pk_mul_f32 v[140:141], v[88:89], s[40:41] op_sel:[1,0] op_sel_hi:[0,0]
	v_mov_b32_e32 v155, v65
	v_pk_fma_f32 v[64:65], v[48:49], s[36:37], v[140:141] op_sel_hi:[1,0,1] neg_lo:[0,0,1] neg_hi:[0,0,1]
	v_pk_fma_f32 v[152:153], v[48:49], s[36:37], v[140:141] op_sel_hi:[1,0,1]
	s_mov_b32 s44, 0x3e750f2a
	v_mov_b32_e32 v153, v65
	s_mov_b32 s38, s0
	s_mov_b32 s39, s22
	;; [unrolled: 1-line block ×3, first 2 shown]
	v_pk_add_f32 v[126:127], v[152:153], v[126:127]
	v_pk_mul_f32 v[152:153], v[48:49], s[38:39]
	v_mov_b32_e32 v147, v160
	v_pk_mul_f32 v[160:161], v[88:89], s[44:45] op_sel:[1,0]
	v_mov_b32_e32 v153, v146
	v_mov_b32_e32 v146, v160
	v_pk_add_f32 v[146:147], v[152:153], v[146:147] neg_lo:[0,1] neg_hi:[0,1]
	v_pk_mul_f32 v[152:153], v[86:87], s[44:45] op_sel:[1,0] op_sel_hi:[0,0]
	v_mov_b32_e32 v40, v147
	v_pk_add_f32 v[110:111], v[40:41], v[110:111]
	v_pk_fma_f32 v[162:163], v[58:59], s[0:1], v[152:153] op_sel_hi:[1,0,1] neg_lo:[0,0,1] neg_hi:[0,0,1]
	v_pk_add_f32 v[146:147], v[146:147], v[110:111]
	v_pk_fma_f32 v[110:111], v[58:59], s[0:1], v[152:153] op_sel_hi:[1,0,1]
	v_pk_mul_f32 v[122:123], v[122:123], s[26:27] op_sel:[1,0] op_sel_hi:[0,0]
	v_mov_b32_e32 v111, v163
	v_pk_add_f32 v[110:111], v[110:111], v[126:127]
	v_pk_fma_f32 v[126:127], v[102:103], s[22:23], v[122:123] op_sel_hi:[1,0,1]
	v_pk_fma_f32 v[164:165], v[102:103], s[22:23], v[122:123] op_sel_hi:[1,0,1] neg_lo:[0,0,1] neg_hi:[0,0,1]
	v_pk_mul_f32 v[124:125], v[124:125], s[40:41] op_sel:[1,0] op_sel_hi:[0,0]
	v_mov_b32_e32 v164, v126
	v_pk_add_f32 v[148:149], v[164:165], v[148:149]
	v_pk_fma_f32 v[164:165], v[50:51], s[36:37], v[124:125] op_sel_hi:[1,0,1]
	v_pk_fma_f32 v[166:167], v[50:51], s[36:37], v[124:125] op_sel_hi:[1,0,1] neg_lo:[0,0,1] neg_hi:[0,0,1]
	v_mov_b32_e32 v151, v127
	v_mov_b32_e32 v166, v164
	v_pk_add_f32 v[148:149], v[166:167], v[148:149]
	v_pk_mul_f32 v[166:167], v[88:89], s[24:25] op_sel:[1,0] op_sel_hi:[0,0]
	v_pk_fma_f32 v[168:169], v[48:49], s[20:21], v[166:167] op_sel_hi:[1,0,1]
	v_pk_add_f32 v[126:127], v[150:151], v[144:145]
	v_mov_b32_e32 v159, v165
	v_pk_add_f32 v[126:127], v[158:159], v[126:127]
	v_mov_b32_e32 v65, v169
	v_pk_add_f32 v[64:65], v[64:65], v[126:127]
	v_pk_mul_f32 v[126:127], v[86:87], s[42:43] op_sel:[1,0] op_sel_hi:[0,0]
	v_pk_fma_f32 v[144:145], v[58:59], s[30:31], v[126:127] op_sel_hi:[1,0,1]
	v_pk_fma_f32 v[170:171], v[48:49], s[20:21], v[166:167] op_sel_hi:[1,0,1] neg_lo:[0,0,1] neg_hi:[0,0,1]
	v_mov_b32_e32 v163, v145
	v_mov_b32_e32 v170, v168
	v_pk_add_f32 v[150:151], v[162:163], v[64:65]
	v_pk_fma_f32 v[64:65], v[58:59], s[30:31], v[126:127] op_sel_hi:[1,0,1] neg_lo:[0,0,1] neg_hi:[0,0,1]
	v_pk_add_f32 v[148:149], v[170:171], v[148:149]
	v_mov_b32_e32 v145, v65
	v_pk_add_f32 v[64:65], v[144:145], v[148:149]
	v_pk_mul_f32 v[144:145], v[46:47], s[10:11] op_sel:[1,0] op_sel_hi:[0,0]
	v_pk_fma_f32 v[148:149], v[42:43], s[0:1], v[144:145] op_sel_hi:[1,0,1]
	v_pk_fma_f32 v[158:159], v[42:43], s[0:1], v[144:145] op_sel_hi:[1,0,1] neg_lo:[0,0,1] neg_hi:[0,0,1]
	v_pk_add_f32 v[84:85], v[132:133], v[84:85]
	v_mov_b32_e32 v158, v148
	v_pk_add_f32 v[72:73], v[84:85], v[72:73]
	v_pk_add_f32 v[64:65], v[158:159], v[64:65]
	v_pk_mul_f32 v[158:159], v[102:103], s[30:31] op_sel_hi:[1,0]
	v_pk_mul_f32 v[162:163], v[102:103], s[20:21] op_sel_hi:[1,0]
	;; [unrolled: 1-line block ×3, first 2 shown]
	v_pk_add_f32 v[72:73], v[72:73], v[76:77]
	v_mov_b32_e32 v103, v162
	v_mov_b32_e32 v123, v108
	v_pk_add_f32 v[72:73], v[72:73], v[80:81]
	v_pk_add_f32 v[102:103], v[102:103], v[122:123] neg_lo:[0,1] neg_hi:[0,1]
	v_pk_add_f32 v[72:73], v[72:73], v[82:83]
	v_mov_b32_e32 v142, v109
	v_pk_add_f32 v[102:103], v[102:103], v[120:121]
	v_pk_mul_f32 v[108:109], v[50:51], s[36:37] op_sel_hi:[1,0]
	v_pk_mul_f32 v[120:121], v[50:51], s[0:1] op_sel_hi:[1,0]
	v_pk_add_f32 v[70:71], v[72:73], v[70:71]
	v_mov_b32_e32 v109, v120
	v_mov_b32_e32 v125, v54
	s_mov_b32 s10, s45
	v_pk_add_f32 v[128:129], v[156:157], v[128:129]
	v_pk_add_f32 v[70:71], v[70:71], v[74:75]
	v_mov_b32_e32 v91, v93
	v_mov_b32_e32 v158, v163
	v_pk_add_f32 v[108:109], v[108:109], v[124:125] neg_lo:[0,1] neg_hi:[0,1]
	v_pk_mul_f32 v[124:125], v[46:47], s[10:11] op_sel:[1,0] op_sel_hi:[0,0]
	v_pk_add_f32 v[128:129], v[154:155], v[128:129]
	v_pk_fma_f32 v[154:155], v[48:49], s[38:39], v[160:161] op_sel_hi:[0,1,1]
	v_mov_b32_e32 v89, v49
	s_mov_b32 s11, s0
	v_pk_add_f32 v[72:73], v[70:71], v[78:79]
	v_pk_add_f32 v[70:71], v[90:91], v[130:131]
	v_mov_b32_e32 v95, v97
	v_pk_add_f32 v[142:143], v[142:143], v[158:159]
	v_pk_fma_f32 v[158:159], v[42:43], s[22:23], v[124:125] op_sel_hi:[1,0,1] neg_lo:[0,0,1] neg_hi:[0,0,1]
	v_pk_fma_f32 v[162:163], v[42:43], s[22:23], v[124:125] op_sel_hi:[1,0,1]
	v_pk_add_f32 v[138:139], v[154:155], v[138:139]
	v_mov_b32_e32 v154, v49
	v_mov_b32_e32 v155, v88
	v_pk_mul_f32 v[156:157], v[42:43], s[22:23] op_sel_hi:[1,0]
	s_mov_b32 s23, s44
	v_pk_mul_f32 v[88:89], v[88:89], s[10:11]
	v_pk_add_f32 v[70:71], v[94:95], v[70:71]
	v_mov_b32_e32 v101, v99
	v_mov_b32_e32 v148, v158
	;; [unrolled: 1-line block ×3, first 2 shown]
	v_pk_fma_f32 v[158:159], v[154:155], s[22:23], v[88:89] neg_lo:[1,0,0] neg_hi:[1,0,0]
	v_pk_fma_f32 v[164:165], v[154:155], s[22:23], v[88:89]
	v_pk_fma_f32 v[88:89], v[154:155], s[22:23], v[88:89] neg_lo:[0,0,1] neg_hi:[0,0,1]
	v_pk_add_f32 v[70:71], v[100:101], v[70:71]
	v_mov_b32_e32 v107, v105
	s_mov_b32 s10, s28
	s_mov_b32 s11, s20
	;; [unrolled: 1-line block ×4, first 2 shown]
	v_pk_add_f32 v[74:75], v[106:107], v[70:71]
	v_pk_mul_f32 v[70:71], v[58:59], s[10:11] op_sel_hi:[0,1]
	v_pk_mul_f32 v[76:77], v[86:87], s[22:23] op_sel:[1,0]
	v_mov_b32_e32 v40, v71
	v_mov_b32_e32 v54, v77
	;; [unrolled: 1-line block ×4, first 2 shown]
	v_pk_add_f32 v[78:79], v[40:41], v[54:55] neg_lo:[0,1] neg_hi:[0,1]
	v_pk_add_f32 v[80:81], v[60:61], v[70:71]
	v_pk_add_f32 v[102:103], v[108:109], v[102:103]
	v_pk_mul_f32 v[108:109], v[48:49], s[20:21] op_sel_hi:[1,0]
	v_mov_b32_e32 v79, v81
	v_mov_b32_e32 v80, v59
	;; [unrolled: 1-line block ×3, first 2 shown]
	s_mov_b32 s21, s34
	v_pk_mul_f32 v[82:83], v[80:81], s[20:21]
	v_mov_b32_e32 v87, v59
	s_mov_b32 s25, s28
	v_pk_mul_f32 v[50:51], v[50:51], s[28:29] op_sel_hi:[1,0]
	v_pk_mul_f32 v[122:123], v[48:49], s[30:31] op_sel_hi:[1,0]
	v_mov_b32_e32 v137, v82
	v_pk_fma_f32 v[82:83], v[48:49], s[38:39], v[160:161] op_sel_hi:[0,1,1] neg_lo:[0,0,1] neg_hi:[0,0,1]
	v_pk_mul_f32 v[84:85], v[86:87], s[24:25]
	v_mov_b32_e32 v40, v55
	v_mov_b32_e32 v50, v121
	v_pk_mul_f32 v[48:49], v[48:49], s[36:37] op_sel_hi:[1,0]
	v_mov_b32_e32 v89, v165
	v_pk_fma_f32 v[86:87], v[80:81], s[20:21], v[84:85] neg_lo:[1,0,0] neg_hi:[1,0,0]
	v_pk_fma_f32 v[90:91], v[80:81], s[20:21], v[84:85] neg_lo:[0,0,1] neg_hi:[0,0,1]
	v_pk_fma_f32 v[80:81], v[80:81], s[20:21], v[84:85]
	v_pk_add_f32 v[94:95], v[142:143], v[116:117]
	v_pk_add_f32 v[40:41], v[40:41], v[50:51]
	v_mov_b32_e32 v140, v57
	v_mov_b32_e32 v48, v123
	v_pk_add_f32 v[88:89], v[88:89], v[128:129]
	v_mov_b32_e32 v91, v81
	v_pk_add_f32 v[40:41], v[40:41], v[94:95]
	v_pk_add_f32 v[48:49], v[140:141], v[48:49]
	;; [unrolled: 1-line block ×3, first 2 shown]
	v_pk_mul_f32 v[90:91], v[58:59], s[36:37] op_sel_hi:[1,0]
	v_pk_add_f32 v[40:41], v[48:49], v[40:41]
	v_pk_mul_f32 v[48:49], v[58:59], s[0:1] op_sel_hi:[1,0]
	v_pk_mul_f32 v[92:93], v[42:43], s[28:29] op_sel_hi:[1,0]
	v_mov_b32_e32 v152, v67
	v_mov_b32_e32 v48, v91
	v_pk_add_f32 v[48:49], v[152:153], v[48:49]
	v_mov_b32_e32 v124, v69
	v_mov_b32_e32 v156, v93
	v_pk_add_f32 v[40:41], v[48:49], v[40:41]
	v_pk_add_f32 v[48:49], v[124:125], v[156:157]
	v_mov_b32_e32 v109, v122
	v_pk_add_f32 v[40:41], v[48:49], v[40:41]
	v_mov_b32_e32 v48, v159
	;; [unrolled: 2-line block ×3, first 2 shown]
	v_mov_b32_e32 v82, v83
	v_mov_b32_e32 v83, v84
	v_pk_mul_f32 v[88:89], v[58:59], s[30:31] op_sel_hi:[1,0]
	v_mov_b32_e32 v51, v76
	v_mov_b32_e32 v50, v114
	;; [unrolled: 1-line block ×3, first 2 shown]
	v_pk_add_f32 v[108:109], v[108:109], v[166:167] neg_lo:[0,1] neg_hi:[0,1]
	v_pk_add_f32 v[82:83], v[82:83], v[136:137]
	v_mov_b32_e32 v89, v90
	v_mov_b32_e32 v127, v66
	v_pk_add_f32 v[50:51], v[48:49], v[50:51] neg_lo:[0,1] neg_hi:[0,1]
	s_mov_b32 s25, s29
	v_pk_add_f32 v[78:79], v[78:79], v[82:83]
	v_pk_fma_f32 v[82:83], v[58:59], s[10:11], v[76:77] op_sel_hi:[0,1,1]
	v_pk_add_f32 v[84:85], v[108:109], v[102:103]
	v_pk_add_f32 v[88:89], v[88:89], v[126:127] neg_lo:[0,1] neg_hi:[0,1]
	v_mov_b32_e32 v49, v51
	v_mov_b32_e32 v50, v87
	v_mov_b32_e32 v51, v146
	s_mov_b32 s21, s35
	v_pk_mul_f32 v[54:55], v[46:47], s[24:25] op_sel:[1,0]
	v_mov_b32_e32 v47, v43
	s_mov_b32 s10, s29
	v_pk_add_f32 v[84:85], v[88:89], v[84:85]
	v_pk_mul_f32 v[88:89], v[42:43], s[0:1] op_sel_hi:[1,0]
	v_pk_add_f32 v[48:49], v[48:49], v[50:51]
	v_mov_b32_e32 v50, v43
	v_mov_b32_e32 v51, v46
	s_mov_b32 s0, s35
	s_mov_b32 s1, s24
	v_pk_mul_f32 v[46:47], v[46:47], s[10:11]
	v_pk_mul_f32 v[56:57], v[42:43], s[20:21] op_sel_hi:[0,1]
	v_mov_b32_e32 v57, v56
	v_mov_b32_e32 v56, v47
	v_pk_fma_f32 v[70:71], v[50:51], s[0:1], v[46:47] neg_lo:[0,0,1] neg_hi:[0,0,1]
	v_pk_fma_f32 v[46:47], v[50:51], s[0:1], v[46:47]
	v_pk_mul_f32 v[50:51], v[50:51], s[0:1]
	v_mov_b32_e32 v89, v92
	v_mov_b32_e32 v50, v51
	;; [unrolled: 1-line block ×3, first 2 shown]
	v_pk_add_f32 v[50:51], v[56:57], v[50:51] neg_lo:[0,1] neg_hi:[0,1]
	v_mov_b32_e32 v145, v68
	v_pk_add_f32 v[66:67], v[50:51], v[48:49]
	v_pk_fma_f32 v[48:49], v[42:43], s[20:21], v[54:55] op_sel_hi:[0,1,1]
	v_pk_fma_f32 v[42:43], v[42:43], s[20:21], v[54:55] op_sel_hi:[0,1,1] neg_lo:[0,0,1] neg_hi:[0,0,1]
	v_mov_b32_e32 v53, v113
	v_pk_add_f32 v[82:83], v[82:83], v[138:139]
	v_pk_add_f32 v[88:89], v[88:89], v[144:145] neg_lo:[0,1] neg_hi:[0,1]
	v_mov_b32_e32 v71, v47
	v_mov_b32_e32 v50, v43
	;; [unrolled: 1-line block ×3, first 2 shown]
	v_pk_add_f32 v[58:59], v[88:89], v[84:85]
	v_pk_add_f32 v[68:69], v[48:49], v[82:83]
	v_pk_add_f32 v[70:71], v[70:71], v[80:81]
	v_pk_add_f32 v[48:49], v[148:149], v[150:151]
	v_pk_add_f32 v[42:43], v[162:163], v[110:111]
	v_pk_add_f32 v[44:45], v[72:73], v[44:45]
	v_pk_add_f32 v[54:55], v[52:53], v[74:75]
	v_pk_add_f32 v[56:57], v[50:51], v[78:79]
	s_and_saveexec_b64 s[0:1], s[4:5]
	s_cbranch_execz .LBB0_13
; %bb.12:
	v_mov_b32_e32 v46, v58
	v_mov_b32_e32 v47, v49
	ds_write2_b64 v60, v[44:45], v[46:47] offset1:63
	v_mov_b32_e32 v46, v59
	v_mov_b32_e32 v47, v40
	ds_write2_b64 v60, v[46:47], v[54:55] offset0:126 offset1:189
	v_mov_b32_e32 v46, v48
	v_mov_b32_e32 v47, v41
	;; [unrolled: 1-line block ×4, first 2 shown]
	v_add_u32_e32 v52, 0x400, v60
	ds_write2_b64 v52, v[46:47], v[50:51] offset0:124 offset1:187
	v_mov_b32_e32 v46, v69
	v_mov_b32_e32 v47, v70
	v_add_u32_e32 v50, 0x800, v60
	ds_write2_b64 v50, v[56:57], v[46:47] offset0:122 offset1:185
	v_mov_b32_e32 v46, v68
	v_mov_b32_e32 v47, v66
	v_add_u32_e32 v50, 0xc00, v60
	ds_write2_b64 v50, v[46:47], v[42:43] offset0:120 offset1:183
	v_add_u32_e32 v46, 0x1000, v60
	ds_write2_b64 v46, v[36:37], v[38:39] offset0:118 offset1:181
	ds_write_b64 v60, v[64:65] offset:6048
.LBB0_13:
	s_or_b64 exec, exec, s[0:1]
	s_waitcnt lgkmcnt(0)
	s_barrier
	s_and_saveexec_b64 s[0:1], s[8:9]
	s_cbranch_execz .LBB0_15
; %bb.14:
	v_mov_b32_e32 v61, 0
	v_lshl_add_u64 v[46:47], s[16:17], 0, v[60:61]
	v_add_co_u32_e32 v50, vcc, 0x1000, v46
	s_movk_i32 s20, 0x2000
	s_nop 0
	v_addc_co_u32_e32 v51, vcc, 0, v47, vcc
	global_load_dwordx2 v[50:51], v[50:51], off offset:2456
	v_add_co_u32_e32 v72, vcc, s20, v46
	s_mov_b64 s[10:11], 0x1998
	s_nop 0
	v_addc_co_u32_e32 v73, vcc, 0, v47, vcc
	v_lshl_add_u64 v[52:53], v[46:47], 0, s[10:11]
	v_add_co_u32_e32 v46, vcc, 0x3000, v46
	global_load_dwordx2 v[84:85], v[52:53], off offset:728
	global_load_dwordx2 v[86:87], v[52:53], off offset:1456
	v_addc_co_u32_e32 v47, vcc, 0, v47, vcc
	global_load_dwordx2 v[88:89], v[52:53], off offset:2184
	global_load_dwordx2 v[90:91], v[52:53], off offset:2912
	;; [unrolled: 1-line block ×5, first 2 shown]
	ds_read_b64 v[52:53], v60
	global_load_dwordx2 v[46:47], v[46:47], off offset:88
	v_add_u32_e32 v61, 0x800, v60
	v_add_u32_e32 v100, 0xc00, v60
	;; [unrolled: 1-line block ×3, first 2 shown]
	s_waitcnt vmcnt(8) lgkmcnt(0)
	v_mul_f32_e32 v72, v53, v51
	v_mul_f32_e32 v73, v52, v51
	v_fma_f32 v72, v52, v50, -v72
	v_fmac_f32_e32 v73, v53, v50
	ds_write_b64 v60, v[72:73]
	ds_read2_b64 v[50:53], v60 offset0:91 offset1:182
	ds_read2_b64 v[72:75], v61 offset0:17 offset1:108
	;; [unrolled: 1-line block ×4, first 2 shown]
	s_waitcnt vmcnt(5) lgkmcnt(2)
	v_mul_f32_e32 v103, v73, v89
	v_mul_f32_e32 v98, v51, v85
	v_mul_f32_e32 v99, v50, v85
	v_mul_f32_e32 v102, v53, v87
	v_mul_f32_e32 v85, v52, v87
	v_mul_f32_e32 v87, v72, v89
	s_waitcnt vmcnt(4)
	v_mul_f32_e32 v104, v75, v91
	v_mul_f32_e32 v89, v74, v91
	s_waitcnt vmcnt(1) lgkmcnt(1)
	v_mul_f32_e32 v105, v77, v97
	v_mul_f32_e32 v91, v76, v97
	;; [unrolled: 1-line block ×4, first 2 shown]
	s_waitcnt lgkmcnt(0)
	v_mul_f32_e32 v107, v81, v95
	v_mul_f32_e32 v93, v80, v95
	s_waitcnt vmcnt(0)
	v_mul_f32_e32 v108, v83, v47
	v_mul_f32_e32 v95, v82, v47
	v_fma_f32 v98, v50, v84, -v98
	v_fmac_f32_e32 v99, v51, v84
	v_fma_f32 v84, v52, v86, -v102
	v_fmac_f32_e32 v85, v53, v86
	;; [unrolled: 2-line block ×8, first 2 shown]
	ds_write2_b64 v60, v[98:99], v[84:85] offset0:91 offset1:182
	ds_write2_b64 v61, v[86:87], v[88:89] offset0:17 offset1:108
	;; [unrolled: 1-line block ×4, first 2 shown]
.LBB0_15:
	s_or_b64 exec, exec, s[0:1]
	s_waitcnt lgkmcnt(0)
	s_barrier
	s_and_saveexec_b64 s[0:1], s[2:3]
	s_xor_b64 s[0:1], exec, s[0:1]
	s_andn2_saveexec_b64 s[0:1], s[0:1]
	s_cbranch_execz .LBB0_17
; %bb.16:
	v_add_u32_e32 v40, 0x400, v60
	ds_read2_b64 v[52:55], v40 offset0:54 offset1:145
	v_add_u32_e32 v40, 0x800, v60
	ds_read2_b64 v[48:51], v40 offset0:108 offset1:199
	;; [unrolled: 2-line block ×3, first 2 shown]
	ds_read2_b64 v[44:47], v60 offset1:91
	ds_read_b64 v[66:67], v60 offset:5824
	s_waitcnt lgkmcnt(4)
	v_mov_b32_e32 v40, v53
	s_waitcnt lgkmcnt(3)
	v_mov_b32_e32 v41, v49
	;; [unrolled: 2-line block ×3, first 2 shown]
	v_mov_b32_e32 v71, v51
	s_waitcnt lgkmcnt(0)
	v_mov_b32_e32 v68, v66
	v_mov_b32_e32 v69, v58
	;; [unrolled: 1-line block ×7, first 2 shown]
.LBB0_17:
	s_or_b64 exec, exec, s[0:1]
	v_pk_add_f32 v[76:77], v[56:57], v[54:55]
	v_pk_add_f32 v[46:47], v[54:55], v[56:57] neg_lo:[0,1] neg_hi:[0,1]
	v_mov_b32_e32 v56, v49
	v_mov_b32_e32 v57, v58
	;; [unrolled: 1-line block ×4, first 2 shown]
	v_pk_add_f32 v[72:73], v[40:41], v[70:71] neg_lo:[0,1] neg_hi:[0,1]
	v_pk_add_f32 v[56:57], v[56:57], v[74:75] neg_lo:[0,1] neg_hi:[0,1]
	v_mov_b32_e32 v82, v73
	v_mov_b32_e32 v83, v56
	s_mov_b32 s22, 0x3f248dbb
	s_mov_b32 s0, 0x3f5db3d7
	v_pk_mul_f32 v[82:83], v[82:83], s[22:23] op_sel_hi:[1,0]
	v_mov_b32_e32 v84, v56
	v_mov_b32_e32 v85, v72
	s_mov_b32 s24, 0x3f7c1c5c
	v_pk_mul_f32 v[54:55], v[46:47], s[0:1] op_sel_hi:[1,0]
	v_mov_b32_e32 v78, v67
	v_mov_b32_e32 v79, v71
	;; [unrolled: 1-line block ×4, first 2 shown]
	v_pk_fma_f32 v[86:87], v[84:85], s[24:25], v[82:83] op_sel_hi:[1,0,1] neg_lo:[0,0,1] neg_hi:[0,0,1]
	v_pk_fma_f32 v[82:83], v[84:85], s[24:25], v[82:83] op_sel_hi:[1,0,1]
	v_pk_add_f32 v[50:51], v[68:69], v[58:59]
	v_pk_add_f32 v[74:75], v[78:79], v[80:81]
	v_pk_add_f32 v[84:85], v[86:87], v[54:55] op_sel:[0,1] neg_lo:[0,1] neg_hi:[0,1]
	v_pk_fma_f32 v[82:83], v[46:47], s[0:1], v[82:83] op_sel_hi:[1,0,1]
	s_mov_b32 s10, 0x3f441b7d
	v_mov_b32_e32 v85, v83
	v_mov_b32_e32 v82, v74
	;; [unrolled: 1-line block ×3, first 2 shown]
	v_pk_fma_f32 v[82:83], v[82:83], s[10:11], v[44:45] op_sel_hi:[1,0,0]
	s_mov_b32 s20, 0x3e31d0d4
	v_pk_mul_f32 v[52:53], v[76:77], 0.5 op_sel_hi:[1,0]
	v_pk_fma_f32 v[82:83], v[50:51], s[20:21], v[82:83] op_sel_hi:[1,0,1]
	v_mov_b32_e32 v86, v51
	v_pk_add_f32 v[82:83], v[82:83], v[52:53] op_sel_hi:[1,0] neg_lo:[0,1] neg_hi:[0,1]
	v_mov_b32_e32 v87, v74
	s_mov_b32 s26, 0x3f708fb2
	v_pk_fma_f32 v[82:83], v[86:87], s[26:27], v[82:83] op_sel_hi:[1,0,1] neg_lo:[1,0,0] neg_hi:[1,0,0]
	v_mov_b32_e32 v86, v66
	v_mov_b32_e32 v71, v40
	;; [unrolled: 1-line block ×7, first 2 shown]
	v_pk_add_f32 v[48:49], v[40:41], v[66:67] neg_lo:[0,1] neg_hi:[0,1]
	v_mov_b32_e32 v41, v57
	v_mov_b32_e32 v40, v49
	v_pk_mul_f32 v[40:41], v[40:41], s[22:23] op_sel_hi:[1,0]
	v_mov_b32_e32 v58, v57
	v_mov_b32_e32 v59, v48
	v_pk_fma_f32 v[66:67], v[58:59], s[24:25], v[40:41] op_sel_hi:[1,0,1] neg_lo:[0,0,1] neg_hi:[0,0,1]
	v_pk_fma_f32 v[40:41], v[58:59], s[24:25], v[40:41] op_sel_hi:[1,0,1]
	v_pk_fma_f32 v[46:47], v[46:47], s[0:1], v[66:67] op_sel_hi:[1,0,1] neg_lo:[1,0,0] neg_hi:[1,0,0]
	v_pk_add_f32 v[40:41], v[40:41], v[54:55] op_sel_hi:[1,0]
	s_mov_b32 s2, 0x3eaf1d44
	v_pk_add_f32 v[70:71], v[86:87], v[70:71]
	v_mov_b32_e32 v47, v41
	v_pk_fma_f32 v[40:41], v[48:49], s[2:3], v[46:47] op_sel_hi:[1,0,1]
	v_mov_b32_e32 v46, v75
	v_mov_b32_e32 v47, v70
	v_pk_fma_f32 v[46:47], v[46:47], s[10:11], v[44:45] op_sel:[0,0,1] op_sel_hi:[1,0,1]
	v_mov_b32_e32 v58, v71
	v_pk_fma_f32 v[46:47], v[70:71], s[20:21], v[46:47] op_sel_hi:[1,0,1]
	v_mov_b32_e32 v59, v75
	v_pk_add_f32 v[46:47], v[46:47], v[52:53] op_sel:[0,1] neg_lo:[0,1] neg_hi:[0,1]
	v_pk_fma_f32 v[84:85], v[72:73], s[2:3], v[84:85] op_sel_hi:[1,0,1]
	v_pk_fma_f32 v[46:47], v[58:59], s[26:27], v[46:47] op_sel_hi:[1,0,1] neg_lo:[1,0,0] neg_hi:[1,0,0]
	v_pk_add_f32 v[82:83], v[82:83], v[84:85] neg_lo:[0,1] neg_hi:[0,1]
	v_pk_add_f32 v[58:59], v[40:41], v[46:47]
	v_pk_fma_f32 v[46:47], v[84:85], 2.0, v[82:83] op_sel_hi:[1,0,1]
	v_pk_fma_f32 v[40:41], v[40:41], 2.0, v[58:59] op_sel_hi:[1,0,1] neg_lo:[1,0,0] neg_hi:[1,0,0]
	s_barrier
	s_and_saveexec_b64 s[22:23], s[8:9]
	s_cbranch_execz .LBB0_19
; %bb.18:
	v_mov_b32_e32 v66, v51
	v_mov_b32_e32 v67, v71
	;; [unrolled: 1-line block ×3, first 2 shown]
	v_pk_add_f32 v[68:69], v[66:67], v[50:51]
	v_lshlrev_b32_e32 v61, 3, v118
	v_pk_add_f32 v[70:71], v[76:77], v[68:69]
	v_pk_add_f32 v[76:77], v[76:77], v[44:45]
	;; [unrolled: 1-line block ×5, first 2 shown]
	v_mov_b32_e32 v78, v83
	v_pk_add_f32 v[70:71], v[44:45], v[70:71]
	v_mov_b32_e32 v79, v59
	ds_write2_b64 v61, v[70:71], v[78:79] offset1:1
	v_mov_b32_e32 v70, v73
	v_mov_b32_e32 v71, v49
	v_pk_add_f32 v[78:79], v[70:71], v[56:57]
	v_mov_b32_e32 v73, v48
	v_pk_add_f32 v[48:49], v[78:79], v[72:73] neg_lo:[0,1] neg_hi:[0,1]
	v_pk_fma_f32 v[68:69], -0.5, v[68:69], v[76:77] op_sel_hi:[0,1,1]
	v_pk_mul_f32 v[78:79], v[48:49], s[0:1] op_sel_hi:[1,0]
	v_pk_fma_f32 v[76:77], v[48:49], s[0:1], v[68:69] op_sel_hi:[1,0,1] neg_lo:[1,0,0] neg_hi:[1,0,0]
	v_pk_fma_f32 v[48:49], v[48:49], s[0:1], v[68:69] op_sel_hi:[1,0,1]
	v_mov_b32_e32 v83, v58
	v_mov_b32_e32 v48, v76
	s_mov_b32 s24, 0xbf7c1c5c
	v_mov_b32_e32 v77, v49
	ds_write2_b64 v61, v[82:83], v[48:49] offset0:2 offset1:3
	s_mov_b32 s0, 0xbf248dbb
	v_pk_mul_f32 v[48:49], v[70:71], s[24:25] op_sel_hi:[1,0]
	v_pk_fma_f32 v[44:45], v[66:67], s[10:11], v[44:45] op_sel_hi:[1,0,1]
	v_pk_fma_f32 v[48:49], v[72:73], s[0:1], v[48:49] op_sel_hi:[1,0,1]
	;; [unrolled: 1-line block ×3, first 2 shown]
	v_pk_add_f32 v[48:49], v[54:55], v[48:49] op_sel:[1,0] op_sel_hi:[0,1]
	v_pk_add_f32 v[44:45], v[44:45], v[52:53] neg_lo:[0,1] neg_hi:[0,1]
	s_mov_b32 s0, 0xbf708fb2
	v_pk_fma_f32 v[48:49], v[56:57], s[2:3], v[48:49] op_sel_hi:[1,0,1]
	v_pk_fma_f32 v[44:45], v[50:51], s[0:1], v[44:45] op_sel_hi:[1,0,1]
	v_pk_fma_f32 v[52:53], v[78:79], 2.0, v[76:77] op_sel_hi:[1,0,1]
	v_pk_add_f32 v[50:51], v[44:45], v[48:49] neg_lo:[0,1] neg_hi:[0,1]
	v_pk_add_f32 v[44:45], v[44:45], v[48:49]
	s_nop 0
	v_mov_b32_e32 v51, v45
	ds_write_b64 v61, v[50:51] offset:32
	v_pk_fma_f32 v[44:45], v[48:49], 2.0, v[50:51] op_sel_hi:[1,0,1]
	v_pk_fma_f32 v[48:49], v[48:49], 2.0, v[50:51] op_sel_hi:[1,0,1] neg_lo:[1,0,0] neg_hi:[1,0,0]
	v_pk_fma_f32 v[50:51], v[78:79], 2.0, v[76:77] op_sel_hi:[1,0,1] neg_lo:[1,0,0] neg_hi:[1,0,0]
	v_mov_b32_e32 v45, v49
	v_mov_b32_e32 v53, v51
	ds_write2_b64 v61, v[44:45], v[52:53] offset0:5 offset1:6
	v_mov_b32_e32 v44, v46
	v_mov_b32_e32 v45, v40
	;; [unrolled: 1-line block ×4, first 2 shown]
	ds_write2_b64 v61, v[44:45], v[48:49] offset0:7 offset1:8
.LBB0_19:
	s_or_b64 exec, exec, s[22:23]
	v_add_u32_e32 v44, 0x400, v60
	s_waitcnt lgkmcnt(0)
	s_barrier
	ds_read2_b64 v[48:51], v44 offset0:106 offset1:223
	ds_read2_b64 v[52:55], v60 offset1:117
	v_add_u32_e32 v44, 0xc00, v60
	ds_read2_b64 v[56:59], v44 offset0:84 offset1:201
	ds_read_b64 v[44:45], v60 offset:5616
	v_mov_b32_e32 v68, v9
	s_waitcnt lgkmcnt(3)
	v_pk_mul_f32 v[70:71], v[8:9], v[50:51] op_sel:[0,1] op_sel_hi:[1,0]
	v_pk_mul_f32 v[66:67], v[8:9], v[50:51]
	v_mov_b32_e32 v70, v71
	s_waitcnt lgkmcnt(1)
	v_pk_mul_f32 v[72:73], v[10:11], v[56:57] op_sel:[0,1] op_sel_hi:[1,0]
	v_pk_fma_f32 v[8:9], v[8:9], v[50:51], v[70:71] op_sel:[0,1,0] op_sel_hi:[1,0,1] neg_lo:[0,0,1] neg_hi:[0,0,1]
	v_mov_b32_e32 v70, v11
	v_mov_b32_e32 v72, v73
	v_pk_mul_f32 v[68:69], v[68:69], v[50:51] op_sel:[0,1] op_sel_hi:[1,0]
	v_pk_mul_f32 v[50:51], v[10:11], v[56:57]
	v_pk_mul_f32 v[70:71], v[70:71], v[56:57] op_sel:[0,1] op_sel_hi:[1,0]
	v_pk_fma_f32 v[10:11], v[10:11], v[56:57], v[72:73] op_sel:[0,1,0] op_sel_hi:[1,0,1] neg_lo:[0,0,1] neg_hi:[0,0,1]
	v_mov_b32_e32 v56, v55
	v_pk_mul_f32 v[72:73], v[4:5], v[54:55] op_sel_hi:[1,0]
	s_mov_b32 s20, 0x3f4a47b2
	v_pk_fma_f32 v[56:57], v[4:5], v[56:57], v[72:73] op_sel:[0,0,1] op_sel_hi:[1,1,0] neg_lo:[0,0,1] neg_hi:[0,0,1]
	v_pk_fma_f32 v[4:5], v[4:5], v[54:55], v[72:73] op_sel:[0,1,1] op_sel_hi:[1,1,0]
	v_pk_mul_f32 v[54:55], v[6:7], v[48:49] op_sel_hi:[1,0]
	v_mov_b32_e32 v4, v49
	v_mov_b32_e32 v57, v5
	v_pk_fma_f32 v[4:5], v[6:7], v[4:5], v[54:55] op_sel:[0,0,1] op_sel_hi:[1,1,0] neg_lo:[0,0,1] neg_hi:[0,0,1]
	v_pk_fma_f32 v[6:7], v[6:7], v[48:49], v[54:55] op_sel:[0,1,1] op_sel_hi:[1,1,0]
	v_pk_mul_f32 v[48:49], v[0:1], v[58:59] op_sel_hi:[1,0]
	v_mov_b32_e32 v6, v59
	v_mov_b32_e32 v5, v7
	v_pk_fma_f32 v[6:7], v[0:1], v[6:7], v[48:49] op_sel:[0,0,1] op_sel_hi:[1,1,0] neg_lo:[0,0,1] neg_hi:[0,0,1]
	v_pk_fma_f32 v[0:1], v[0:1], v[58:59], v[48:49] op_sel:[0,1,1] op_sel_hi:[1,1,0]
	s_waitcnt lgkmcnt(0)
	v_pk_mul_f32 v[48:49], v[2:3], v[44:45] op_sel_hi:[1,0]
	v_mov_b32_e32 v0, v45
	v_mov_b32_e32 v7, v1
	v_pk_fma_f32 v[0:1], v[2:3], v[0:1], v[48:49] op_sel:[0,0,1] op_sel_hi:[1,1,0] neg_lo:[0,0,1] neg_hi:[0,0,1]
	v_pk_fma_f32 v[2:3], v[2:3], v[44:45], v[48:49] op_sel:[0,1,1] op_sel_hi:[1,1,0]
	v_mov_b32_e32 v51, v56
	v_mov_b32_e32 v1, v3
	v_mov_b32_e32 v71, v0
	v_mov_b32_e32 v67, v4
	v_mov_b32_e32 v69, v6
	v_pk_add_f32 v[2:3], v[56:57], v[0:1]
	v_pk_add_f32 v[48:49], v[56:57], v[0:1] neg_lo:[0,1] neg_hi:[0,1]
	v_pk_add_f32 v[50:51], v[50:51], v[70:71]
	v_pk_add_f32 v[0:1], v[66:67], v[68:69]
	;; [unrolled: 1-line block ×3, first 2 shown]
	v_mov_b32_e32 v11, v50
	v_mov_b32_e32 v9, v0
	v_pk_add_f32 v[54:55], v[4:5], v[6:7] neg_lo:[0,1] neg_hi:[0,1]
	v_pk_add_f32 v[4:5], v[10:11], v[8:9] neg_lo:[0,1] neg_hi:[0,1]
	v_mov_b32_e32 v56, v45
	v_mov_b32_e32 v57, v8
	;; [unrolled: 1-line block ×4, first 2 shown]
	v_pk_add_f32 v[8:9], v[56:57], v[8:9]
	v_pk_add_f32 v[10:11], v[0:1], v[50:51]
	v_mov_b32_e32 v0, v45
	v_mov_b32_e32 v50, v3
	v_pk_add_f32 v[44:45], v[0:1], v[50:51] neg_lo:[0,1] neg_hi:[0,1]
	v_sub_f32_e32 v50, v3, v10
	v_mov_b32_e32 v2, v10
	v_mov_b32_e32 v3, v9
	v_pk_add_f32 v[2:3], v[2:3], v[0:1] neg_lo:[0,1] neg_hi:[0,1]
	v_pk_add_f32 v[0:1], v[4:5], v[54:55]
	v_sub_f32_e32 v61, v48, v4
	v_pk_add_f32 v[6:7], v[54:55], v[48:49] neg_lo:[0,1] neg_hi:[0,1]
	v_pk_add_f32 v[54:55], v[4:5], v[54:55] neg_lo:[0,1] neg_hi:[0,1]
	v_pk_add_f32 v[56:57], v[0:1], v[48:49]
	v_mov_b32_e32 v48, v51
	v_mov_b32_e32 v4, v9
	v_pk_add_f32 v[10:11], v[8:9], v[10:11]
	s_mov_b32 s0, 0x3d64c772
	s_mov_b32 s10, 0x3f08b237
	;; [unrolled: 1-line block ×3, first 2 shown]
	v_pk_add_f32 v[4:5], v[48:49], v[4:5] neg_lo:[0,1] neg_hi:[0,1]
	v_pk_add_f32 v[0:1], v[52:53], v[10:11]
	v_pk_mul_f32 v[2:3], v[2:3], s[0:1] op_sel_hi:[1,0]
	s_mov_b32 s0, 0x3f3bfb3b
	v_pk_mul_f32 v[54:55], v[54:55], s[10:11] op_sel_hi:[1,0]
	v_pk_mul_f32 v[48:49], v[4:5], s[20:21]
	v_mul_f32_e32 v11, 0x3f955555, v11
	v_pk_mul_f32 v[52:53], v[44:45], s[0:1] op_sel_hi:[1,0]
	s_mov_b32 s10, 0xbf5ff5aa
	v_fmamk_f32 v8, v10, 0xbf955555, v0
	v_fmamk_f32 v69, v50, 0x3f4a47b2, v2
	v_pk_fma_f32 v[70:71], v[44:45], s[0:1], v[2:3] op_sel_hi:[1,0,1] neg_lo:[0,0,1] neg_hi:[0,0,1]
	s_mov_b32 s0, 0xbf4a47b2
	v_mov_b32_e32 v2, v55
	v_mov_b32_e32 v10, v49
	s_mov_b32 s2, 0xbee1c552
	v_pk_mul_f32 v[66:67], v[6:7], s[10:11] op_sel_hi:[1,0]
	v_fma_f32 v68, v50, s0, -v52
	s_mov_b32 s0, 0x3eae86e6
	v_pk_add_f32 v[50:51], v[2:3], v[10:11]
	v_mov_b32_e32 v2, v3
	v_pk_mul_f32 v[58:59], v[56:57], s[2:3] op_sel_hi:[1,0]
	v_fmamk_f32 v45, v61, 0xbeae86e6, v54
	v_pk_fma_f32 v[6:7], v[6:7], s[10:11], v[54:55] op_sel_hi:[1,0,1] neg_lo:[0,0,1] neg_hi:[0,0,1]
	v_fma_f32 v44, v61, s0, -v66
	v_pk_add_f32 v[54:55], v[0:1], v[10:11] neg_lo:[0,1] neg_hi:[0,1]
	v_pk_fma_f32 v[2:3], v[4:5], s[20:21], v[2:3]
	v_pk_fma_f32 v[4:5], v[4:5], s[20:21], v[66:67] neg_lo:[1,0,1] neg_hi:[1,0,1]
	v_pk_fma_f32 v[6:7], v[56:57], s[2:3], v[6:7] op_sel_hi:[1,0,1]
	v_pk_add_f32 v[56:57], v[68:69], v[8:9] op_sel_hi:[1,0]
	v_pk_add_f32 v[68:69], v[58:59], v[44:45] op_sel_hi:[0,1]
	v_mov_b32_e32 v51, v55
	v_sub_f32_e64 v49, -v48, v53
	v_mov_b32_e32 v3, v5
	v_mov_b32_e32 v48, v59
	;; [unrolled: 1-line block ×3, first 2 shown]
	v_pk_add_f32 v[4:5], v[48:49], v[50:51]
	v_pk_add_f32 v[48:49], v[2:3], v[58:59]
	v_mov_b32_e32 v9, v55
	v_mov_b32_e32 v2, v5
	;; [unrolled: 1-line block ×5, first 2 shown]
	v_pk_add_f32 v[44:45], v[68:69], v[56:57]
	v_pk_add_f32 v[8:9], v[70:71], v[8:9]
	v_pk_add_f32 v[2:3], v[2:3], v[50:51] neg_lo:[0,1] neg_hi:[0,1]
	v_pk_add_f32 v[50:51], v[6:7], v[8:9]
	v_pk_add_f32 v[6:7], v[8:9], v[6:7] neg_lo:[0,1] neg_hi:[0,1]
	v_pk_add_f32 v[48:49], v[48:49], v[4:5]
	v_mov_b32_e32 v4, v45
	v_mov_b32_e32 v5, v3
	v_pk_add_f32 v[10:11], v[56:57], v[68:69] neg_lo:[0,1] neg_hi:[0,1]
	s_barrier
	ds_write2_b64 v119, v[0:1], v[4:5] offset1:9
	v_mov_b32_e32 v4, v44
	v_mov_b32_e32 v5, v2
	;; [unrolled: 1-line block ×4, first 2 shown]
	ds_write2_b64 v119, v[4:5], v[8:9] offset0:18 offset1:27
	v_mov_b32_e32 v4, v50
	v_mov_b32_e32 v5, v7
	;; [unrolled: 1-line block ×4, first 2 shown]
	ds_write2_b64 v119, v[4:5], v[8:9] offset0:36 offset1:45
	v_mov_b32_e32 v4, v11
	v_mov_b32_e32 v5, v48
	ds_write_b64 v119, v[4:5] offset:432
	s_waitcnt lgkmcnt(0)
	s_barrier
	s_and_saveexec_b64 s[0:1], s[6:7]
	s_xor_b64 s[0:1], exec, s[0:1]
	s_andn2_saveexec_b64 s[0:1], s[0:1]
	s_cbranch_execz .LBB0_21
; %bb.20:
	v_add_u32_e32 v36, 0x800, v60
	ds_read2_b64 v[0:3], v60 offset1:63
	ds_read2_b64 v[4:7], v60 offset0:126 offset1:189
	v_add_u32_e32 v8, 0x400, v60
	ds_read2_b64 v[52:55], v36 offset0:122 offset1:185
	v_add_u32_e32 v36, 0xc00, v60
	ds_read2_b64 v[8:11], v8 offset0:124 offset1:187
	ds_read2_b64 v[40:43], v36 offset0:120 offset1:183
	v_add_u32_e32 v36, 0x1000, v60
	ds_read2_b64 v[36:39], v36 offset0:118 offset1:181
	ds_read_b64 v[64:65], v60 offset:6048
	s_waitcnt lgkmcnt(4)
	v_mov_b32_e32 v46, v54
	v_mov_b32_e32 v48, v53
	s_waitcnt lgkmcnt(2)
	v_mov_b32_e32 v47, v40
	v_mov_b32_e32 v40, v55
	;; [unrolled: 1-line block ×10, first 2 shown]
.LBB0_21:
	s_or_b64 exec, exec, s[0:1]
	s_and_saveexec_b64 s[0:1], s[4:5]
	s_cbranch_execz .LBB0_23
; %bb.22:
	s_waitcnt lgkmcnt(0)
	v_pk_mul_f32 v[4:5], v[30:31], v[64:65] op_sel:[0,1]
	v_pk_mul_f32 v[52:53], v[28:29], v[38:39] op_sel:[0,1]
	v_pk_fma_f32 v[72:73], v[30:31], v[64:65], v[4:5] op_sel:[0,0,1] op_sel_hi:[1,1,0]
	v_pk_fma_f32 v[4:5], v[30:31], v[64:65], v[4:5] op_sel:[0,0,1] op_sel_hi:[1,0,0] neg_lo:[1,0,0] neg_hi:[1,0,0]
	v_pk_mul_f32 v[56:57], v[18:19], v[36:37] op_sel:[0,1]
	v_mov_b32_e32 v73, v5
	v_pk_fma_f32 v[30:31], v[28:29], v[38:39], v[52:53] op_sel:[0,0,1] op_sel_hi:[1,1,0]
	v_pk_fma_f32 v[4:5], v[28:29], v[38:39], v[52:53] op_sel:[0,0,1] op_sel_hi:[1,0,0] neg_lo:[1,0,0] neg_hi:[1,0,0]
	v_pk_mul_f32 v[58:59], v[20:21], v[50:51] op_sel:[0,1]
	v_pk_mul_f32 v[50:51], v[22:23], v[50:51] op_sel_hi:[1,0]
	v_mov_b32_e32 v31, v5
	v_pk_fma_f32 v[28:29], v[18:19], v[36:37], v[56:57] op_sel:[0,0,1] op_sel_hi:[1,1,0]
	v_pk_fma_f32 v[4:5], v[18:19], v[36:37], v[56:57] op_sel:[0,0,1] op_sel_hi:[1,0,0] neg_lo:[1,0,0] neg_hi:[1,0,0]
	v_pk_mul_f32 v[66:67], v[16:17], v[42:43] op_sel:[0,1]
	v_mov_b32_e32 v29, v5
	v_pk_fma_f32 v[36:37], v[22:23], v[6:7], v[50:51] op_sel:[1,1,0] op_sel_hi:[0,1,1]
	v_pk_fma_f32 v[4:5], v[22:23], v[6:7], v[50:51] op_sel:[1,1,0] op_sel_hi:[0,1,1] neg_lo:[0,0,1] neg_hi:[0,0,1]
	v_pk_mul_f32 v[70:71], v[12:13], v[48:49] op_sel:[0,1]
	;; [unrolled: 4-line block ×3, first 2 shown]
	v_mov_b32_e32 v39, v5
	v_pk_fma_f32 v[52:53], v[12:13], v[10:11], v[70:71] op_sel:[0,0,1] op_sel_hi:[1,1,0]
	v_pk_fma_f32 v[4:5], v[12:13], v[10:11], v[70:71] op_sel:[0,0,1] op_sel_hi:[1,0,0] neg_lo:[1,0,0] neg_hi:[1,0,0]
	v_pk_mul_f32 v[48:49], v[14:15], v[48:49] op_sel_hi:[1,0]
	v_mov_b32_e32 v53, v5
	v_pk_fma_f32 v[56:57], v[34:35], v[46:47], v[68:69] op_sel:[0,1,1] op_sel_hi:[1,1,0]
	v_pk_fma_f32 v[4:5], v[34:35], v[46:47], v[68:69] op_sel:[0,1,1] op_sel_hi:[1,1,0] neg_lo:[1,0,0] neg_hi:[1,0,0]
	v_pk_mul_f32 v[40:41], v[32:33], v[40:41] op_sel_hi:[1,0]
	v_mov_b32_e32 v57, v5
	v_pk_fma_f32 v[64:65], v[14:15], v[10:11], v[48:49] op_sel:[0,1,1] op_sel_hi:[1,1,0]
	v_pk_fma_f32 v[4:5], v[14:15], v[10:11], v[48:49] op_sel:[0,1,1] op_sel_hi:[1,1,0] neg_lo:[1,0,0] neg_hi:[1,0,0]
	v_pk_mul_f32 v[8:9], v[24:25], v[44:45] op_sel:[0,1]
	v_mov_b32_e32 v65, v5
	v_pk_fma_f32 v[66:67], v[32:33], v[46:47], v[40:41] op_sel:[0,0,1] op_sel_hi:[1,1,0]
	v_pk_fma_f32 v[4:5], v[32:33], v[46:47], v[40:41] op_sel:[0,0,1] op_sel_hi:[1,0,0] neg_lo:[1,0,0] neg_hi:[1,0,0]
	v_pk_mul_f32 v[54:55], v[26:27], v[2:3] op_sel_hi:[1,0]
	v_mov_b32_e32 v67, v5
	v_pk_fma_f32 v[4:5], v[24:25], v[2:3], v[8:9] op_sel:[1,1,0] op_sel_hi:[0,1,1]
	v_pk_fma_f32 v[2:3], v[24:25], v[2:3], v[8:9] op_sel:[1,1,0] op_sel_hi:[0,1,1] neg_lo:[0,0,1] neg_hi:[0,0,1]
	v_mov_b32_e32 v5, v3
	v_pk_fma_f32 v[32:33], v[26:27], v[44:45], v[54:55] op_sel:[0,0,1] op_sel_hi:[1,1,0]
	v_pk_fma_f32 v[2:3], v[26:27], v[44:45], v[54:55] op_sel:[0,0,1] op_sel_hi:[1,0,0] neg_lo:[1,0,0] neg_hi:[1,0,0]
	v_pk_fma_f32 v[26:27], v[20:21], v[6:7], v[58:59] op_sel:[0,0,1] op_sel_hi:[1,1,0]
	v_mov_b32_e32 v33, v3
	v_pk_fma_f32 v[2:3], v[20:21], v[6:7], v[58:59] op_sel:[0,0,1] op_sel_hi:[1,0,0] neg_lo:[1,0,0] neg_hi:[1,0,0]
	v_pk_add_f32 v[58:59], v[4:5], v[72:73] neg_lo:[0,1] neg_hi:[0,1]
	s_mov_b32 s2, 0xbeedf032
	v_pk_add_f32 v[44:45], v[4:5], v[0:1]
	v_pk_add_f32 v[54:55], v[72:73], v[4:5]
	s_mov_b32 s6, 0x3f62ad3f
	v_pk_mul_f32 v[4:5], v[58:59], s[2:3] op_sel_hi:[1,0]
	v_mov_b32_e32 v27, v3
	v_pk_add_f32 v[70:71], v[32:33], v[30:31] neg_lo:[0,1] neg_hi:[0,1]
	v_pk_fma_f32 v[2:3], v[54:55], s[6:7], v[4:5] op_sel:[0,0,1] op_sel_hi:[1,0,0]
	v_pk_fma_f32 v[4:5], v[54:55], s[6:7], v[4:5] op_sel:[0,0,1] op_sel_hi:[1,0,0] neg_lo:[0,0,1] neg_hi:[0,0,1]
	s_mov_b32 s26, 0xbf52af12
	v_pk_add_f32 v[68:69], v[30:31], v[32:33]
	v_mov_b32_e32 v6, v2
	v_mov_b32_e32 v7, v5
	s_mov_b32 s4, 0x3f116cb1
	v_pk_mul_f32 v[8:9], v[70:71], s[26:27] op_sel_hi:[1,0]
	v_pk_add_f32 v[10:11], v[0:1], v[6:7]
	v_pk_fma_f32 v[6:7], v[68:69], s[4:5], v[8:9] op_sel:[0,0,1] op_sel_hi:[1,0,0]
	v_pk_fma_f32 v[8:9], v[68:69], s[4:5], v[8:9] op_sel:[0,0,1] op_sel_hi:[1,0,0] neg_lo:[0,0,1] neg_hi:[0,0,1]
	v_pk_add_f32 v[76:77], v[26:27], v[28:29] neg_lo:[0,1] neg_hi:[0,1]
	v_mov_b32_e32 v12, v6
	v_mov_b32_e32 v13, v9
	s_mov_b32 s36, 0xbf7e222b
	v_pk_add_f32 v[74:75], v[28:29], v[26:27]
	v_pk_add_f32 v[14:15], v[12:13], v[10:11]
	s_mov_b32 s2, 0x3df6dbef
	v_pk_mul_f32 v[12:13], v[76:77], s[36:37] op_sel_hi:[1,0]
	v_pk_add_f32 v[78:79], v[36:37], v[38:39] neg_lo:[0,1] neg_hi:[0,1]
	v_pk_fma_f32 v[10:11], v[74:75], s[2:3], v[12:13] op_sel:[0,0,1] op_sel_hi:[1,0,0]
	v_pk_fma_f32 v[12:13], v[74:75], s[2:3], v[12:13] op_sel:[0,0,1] op_sel_hi:[1,0,0] neg_lo:[0,0,1] neg_hi:[0,0,1]
	v_mov_b32_e32 v16, v10
	v_mov_b32_e32 v17, v13
	s_mov_b32 s20, 0xbf6f5d39
	v_pk_add_f32 v[32:33], v[32:33], v[44:45]
	v_pk_add_f32 v[50:51], v[38:39], v[36:37]
	;; [unrolled: 1-line block ×3, first 2 shown]
	s_mov_b32 s10, 0xbeb58ec6
	v_pk_mul_f32 v[16:17], v[78:79], s[20:21] op_sel_hi:[1,0]
	v_pk_add_f32 v[26:27], v[26:27], v[32:33]
	v_pk_fma_f32 v[14:15], v[50:51], s[10:11], v[16:17] op_sel:[0,0,1] op_sel_hi:[1,0,0]
	v_pk_fma_f32 v[16:17], v[50:51], s[10:11], v[16:17] op_sel:[0,0,1] op_sel_hi:[1,0,0] neg_lo:[0,0,1] neg_hi:[0,0,1]
	v_pk_add_f32 v[26:27], v[36:37], v[26:27]
	v_pk_add_f32 v[48:49], v[52:53], v[56:57] neg_lo:[0,1] neg_hi:[0,1]
	v_mov_b32_e32 v20, v14
	v_mov_b32_e32 v21, v17
	s_mov_b32 s24, 0xbf29c268
	v_pk_add_f32 v[26:27], v[52:53], v[26:27]
	v_pk_add_f32 v[42:43], v[56:57], v[52:53]
	;; [unrolled: 1-line block ×3, first 2 shown]
	s_mov_b32 s22, 0xbf3f9e67
	v_pk_mul_f32 v[20:21], v[48:49], s[24:25] op_sel_hi:[1,0]
	v_pk_add_f32 v[26:27], v[64:65], v[26:27]
	v_pk_fma_f32 v[18:19], v[42:43], s[22:23], v[20:21] op_sel:[0,0,1] op_sel_hi:[1,0,0]
	v_pk_fma_f32 v[20:21], v[42:43], s[22:23], v[20:21] op_sel:[0,0,1] op_sel_hi:[1,0,0] neg_lo:[0,0,1] neg_hi:[0,0,1]
	v_pk_add_f32 v[26:27], v[66:67], v[26:27]
	v_pk_add_f32 v[40:41], v[64:65], v[66:67] neg_lo:[0,1] neg_hi:[0,1]
	v_mov_b32_e32 v24, v18
	v_mov_b32_e32 v25, v21
	s_mov_b32 s30, 0xbe750f2a
	v_pk_add_f32 v[26:27], v[56:57], v[26:27]
	v_pk_add_f32 v[34:35], v[66:67], v[64:65]
	;; [unrolled: 1-line block ×3, first 2 shown]
	s_mov_b32 s28, 0xbf788fa5
	v_pk_mul_f32 v[24:25], v[40:41], s[30:31] op_sel_hi:[1,0]
	v_pk_add_f32 v[26:27], v[38:39], v[26:27]
	v_pk_fma_f32 v[22:23], v[34:35], s[28:29], v[24:25] op_sel:[0,0,1] op_sel_hi:[1,0,0]
	v_pk_fma_f32 v[24:25], v[34:35], s[28:29], v[24:25] op_sel:[0,0,1] op_sel_hi:[1,0,0] neg_lo:[0,0,1] neg_hi:[0,0,1]
	v_pk_add_f32 v[26:27], v[28:29], v[26:27]
	v_mov_b32_e32 v80, v22
	v_mov_b32_e32 v81, v25
	v_pk_add_f32 v[26:27], v[30:31], v[26:27]
	v_pk_add_f32 v[46:47], v[80:81], v[46:47]
	;; [unrolled: 1-line block ×3, first 2 shown]
	v_pk_mul_f32 v[28:29], v[58:59], s[26:27] op_sel_hi:[1,0]
	ds_write2_b64 v60, v[26:27], v[46:47] offset1:63
	v_pk_fma_f32 v[26:27], v[54:55], s[4:5], v[28:29] op_sel:[0,0,1] op_sel_hi:[1,0,0]
	v_pk_fma_f32 v[28:29], v[54:55], s[4:5], v[28:29] op_sel:[0,0,1] op_sel_hi:[1,0,0] neg_lo:[0,0,1] neg_hi:[0,0,1]
	v_mov_b32_e32 v30, v26
	v_mov_b32_e32 v31, v29
	v_pk_mul_f32 v[32:33], v[70:71], s[20:21] op_sel_hi:[1,0]
	v_pk_add_f32 v[36:37], v[0:1], v[30:31]
	v_pk_fma_f32 v[30:31], v[68:69], s[10:11], v[32:33] op_sel:[0,0,1] op_sel_hi:[1,0,0]
	v_pk_fma_f32 v[32:33], v[68:69], s[10:11], v[32:33] op_sel:[0,0,1] op_sel_hi:[1,0,0] neg_lo:[0,0,1] neg_hi:[0,0,1]
	v_mov_b32_e32 v38, v30
	v_mov_b32_e32 v39, v33
	v_pk_add_f32 v[44:45], v[38:39], v[36:37]
	v_pk_mul_f32 v[38:39], v[76:77], s[30:31] op_sel_hi:[1,0]
	s_mov_b32 s40, 0x3f29c268
	v_pk_fma_f32 v[36:37], v[74:75], s[28:29], v[38:39] op_sel:[0,0,1] op_sel_hi:[1,0,0]
	v_pk_fma_f32 v[38:39], v[74:75], s[28:29], v[38:39] op_sel:[0,0,1] op_sel_hi:[1,0,0] neg_lo:[0,0,1] neg_hi:[0,0,1]
	v_mov_b32_e32 v46, v36
	v_mov_b32_e32 v47, v39
	v_pk_add_f32 v[52:53], v[46:47], v[44:45]
	v_pk_mul_f32 v[46:47], v[78:79], s[40:41] op_sel_hi:[1,0]
	s_mov_b32 s34, 0x3f7e222b
	;; [unrolled: 7-line block ×3, first 2 shown]
	v_pk_fma_f32 v[64:65], v[42:43], s[2:3], v[56:57] op_sel:[0,0,1] op_sel_hi:[1,0,0]
	v_pk_fma_f32 v[56:57], v[42:43], s[2:3], v[56:57] op_sel:[0,0,1] op_sel_hi:[1,0,0] neg_lo:[0,0,1] neg_hi:[0,0,1]
	v_mov_b32_e32 v66, v64
	v_mov_b32_e32 v67, v57
	v_pk_add_f32 v[52:53], v[66:67], v[52:53]
	v_pk_mul_f32 v[66:67], v[40:41], s[38:39] op_sel_hi:[1,0]
	v_pk_mul_f32 v[86:87], v[70:71], s[30:31] op_sel_hi:[1,0]
	v_pk_fma_f32 v[72:73], v[34:35], s[6:7], v[66:67] op_sel:[0,0,1] op_sel_hi:[1,0,0]
	v_pk_fma_f32 v[66:67], v[34:35], s[6:7], v[66:67] op_sel:[0,0,1] op_sel_hi:[1,0,0] neg_lo:[0,0,1] neg_hi:[0,0,1]
	v_mov_b32_e32 v80, v72
	v_mov_b32_e32 v81, v67
	v_pk_add_f32 v[52:53], v[80:81], v[52:53]
	v_pk_mul_f32 v[80:81], v[58:59], s[36:37] op_sel_hi:[1,0]
	v_pk_fma_f32 v[88:89], v[68:69], s[28:29], v[86:87] op_sel:[0,0,1] op_sel_hi:[1,0,0]
	v_pk_fma_f32 v[82:83], v[54:55], s[2:3], v[80:81] op_sel:[0,0,1] op_sel_hi:[1,0,0]
	v_pk_fma_f32 v[80:81], v[54:55], s[2:3], v[80:81] op_sel:[0,0,1] op_sel_hi:[1,0,0] neg_lo:[0,0,1] neg_hi:[0,0,1]
	v_mov_b32_e32 v84, v82
	v_mov_b32_e32 v85, v81
	v_pk_fma_f32 v[86:87], v[68:69], s[28:29], v[86:87] op_sel:[0,0,1] op_sel_hi:[1,0,0] neg_lo:[0,0,1] neg_hi:[0,0,1]
	v_pk_add_f32 v[84:85], v[0:1], v[84:85]
	v_mov_b32_e32 v90, v88
	v_mov_b32_e32 v91, v87
	s_mov_b32 s42, 0x3f6f5d39
	v_pk_add_f32 v[84:85], v[90:91], v[84:85]
	v_pk_mul_f32 v[90:91], v[76:77], s[42:43] op_sel_hi:[1,0]
	v_pk_mul_f32 v[108:109], v[70:71], s[40:41] op_sel_hi:[1,0]
	v_pk_fma_f32 v[92:93], v[74:75], s[10:11], v[90:91] op_sel:[0,0,1] op_sel_hi:[1,0,0]
	v_pk_fma_f32 v[90:91], v[74:75], s[10:11], v[90:91] op_sel:[0,0,1] op_sel_hi:[1,0,0] neg_lo:[0,0,1] neg_hi:[0,0,1]
	v_mov_b32_e32 v94, v92
	v_mov_b32_e32 v95, v91
	v_pk_add_f32 v[84:85], v[94:95], v[84:85]
	v_pk_mul_f32 v[94:95], v[78:79], s[38:39] op_sel_hi:[1,0]
	v_pk_fma_f32 v[110:111], v[68:69], s[22:23], v[108:109] op_sel:[0,0,1] op_sel_hi:[1,0,0]
	v_pk_fma_f32 v[96:97], v[50:51], s[6:7], v[94:95] op_sel:[0,0,1] op_sel_hi:[1,0,0]
	v_pk_fma_f32 v[94:95], v[50:51], s[6:7], v[94:95] op_sel:[0,0,1] op_sel_hi:[1,0,0] neg_lo:[0,0,1] neg_hi:[0,0,1]
	v_mov_b32_e32 v98, v96
	v_mov_b32_e32 v99, v95
	v_pk_add_f32 v[84:85], v[98:99], v[84:85]
	v_pk_mul_f32 v[98:99], v[48:49], s[26:27] op_sel_hi:[1,0]
	v_pk_fma_f32 v[108:109], v[68:69], s[22:23], v[108:109] op_sel:[0,0,1] op_sel_hi:[1,0,0] neg_lo:[0,0,1] neg_hi:[0,0,1]
	v_pk_fma_f32 v[100:101], v[42:43], s[4:5], v[98:99] op_sel:[0,0,1] op_sel_hi:[1,0,0]
	v_pk_fma_f32 v[98:99], v[42:43], s[4:5], v[98:99] op_sel:[0,0,1] op_sel_hi:[1,0,0] neg_lo:[0,0,1] neg_hi:[0,0,1]
	v_mov_b32_e32 v102, v100
	v_mov_b32_e32 v103, v99
	v_pk_add_f32 v[84:85], v[102:103], v[84:85]
	v_pk_mul_f32 v[102:103], v[40:41], s[24:25] op_sel_hi:[1,0]
	v_mov_b32_e32 v112, v110
	v_pk_fma_f32 v[104:105], v[34:35], s[22:23], v[102:103] op_sel:[0,0,1] op_sel_hi:[1,0,0]
	v_pk_fma_f32 v[102:103], v[34:35], s[22:23], v[102:103] op_sel:[0,0,1] op_sel_hi:[1,0,0] neg_lo:[0,0,1] neg_hi:[0,0,1]
	v_mov_b32_e32 v106, v104
	v_mov_b32_e32 v107, v103
	v_pk_add_f32 v[84:85], v[106:107], v[84:85]
	ds_write2_b64 v60, v[52:53], v[84:85] offset0:126 offset1:189
	v_pk_mul_f32 v[52:53], v[58:59], s[20:21] op_sel_hi:[1,0]
	v_mov_b32_e32 v113, v109
	v_pk_fma_f32 v[84:85], v[54:55], s[10:11], v[52:53] op_sel:[0,0,1] op_sel_hi:[1,0,0]
	v_pk_fma_f32 v[52:53], v[54:55], s[10:11], v[52:53] op_sel:[0,0,1] op_sel_hi:[1,0,0] neg_lo:[0,0,1] neg_hi:[0,0,1]
	v_mov_b32_e32 v106, v84
	v_mov_b32_e32 v107, v53
	v_pk_add_f32 v[106:107], v[0:1], v[106:107]
	s_mov_b32 s40, 0x3f52af12
	v_pk_add_f32 v[106:107], v[112:113], v[106:107]
	v_pk_mul_f32 v[112:113], v[76:77], s[38:39] op_sel_hi:[1,0]
	v_pk_mul_f32 v[134:135], v[70:71], s[34:35] op_sel_hi:[1,0]
	v_pk_fma_f32 v[114:115], v[74:75], s[6:7], v[112:113] op_sel:[0,0,1] op_sel_hi:[1,0,0]
	v_pk_fma_f32 v[112:113], v[74:75], s[6:7], v[112:113] op_sel:[0,0,1] op_sel_hi:[1,0,0] neg_lo:[0,0,1] neg_hi:[0,0,1]
	v_mov_b32_e32 v116, v114
	v_mov_b32_e32 v117, v113
	v_pk_add_f32 v[106:107], v[116:117], v[106:107]
	v_pk_mul_f32 v[116:117], v[78:79], s[36:37] op_sel_hi:[1,0]
	s_mov_b32 s36, 0x3e750f2a
	v_pk_fma_f32 v[118:119], v[50:51], s[2:3], v[116:117] op_sel:[0,0,1] op_sel_hi:[1,0,0]
	v_pk_fma_f32 v[116:117], v[50:51], s[2:3], v[116:117] op_sel:[0,0,1] op_sel_hi:[1,0,0] neg_lo:[0,0,1] neg_hi:[0,0,1]
	v_mov_b32_e32 v120, v118
	v_mov_b32_e32 v121, v117
	v_pk_add_f32 v[106:107], v[120:121], v[106:107]
	v_pk_mul_f32 v[120:121], v[48:49], s[36:37] op_sel_hi:[1,0]
	v_pk_fma_f32 v[136:137], v[68:69], s[2:3], v[134:135] op_sel:[0,0,1] op_sel_hi:[1,0,0]
	v_pk_fma_f32 v[122:123], v[42:43], s[28:29], v[120:121] op_sel:[0,0,1] op_sel_hi:[1,0,0]
	v_pk_fma_f32 v[120:121], v[42:43], s[28:29], v[120:121] op_sel:[0,0,1] op_sel_hi:[1,0,0] neg_lo:[0,0,1] neg_hi:[0,0,1]
	v_mov_b32_e32 v124, v122
	v_mov_b32_e32 v125, v121
	v_pk_add_f32 v[106:107], v[124:125], v[106:107]
	v_pk_mul_f32 v[124:125], v[40:41], s[40:41] op_sel_hi:[1,0]
	v_pk_fma_f32 v[134:135], v[68:69], s[2:3], v[134:135] op_sel:[0,0,1] op_sel_hi:[1,0,0] neg_lo:[0,0,1] neg_hi:[0,0,1]
	v_pk_fma_f32 v[126:127], v[34:35], s[4:5], v[124:125] op_sel:[0,0,1] op_sel_hi:[1,0,0]
	v_pk_fma_f32 v[124:125], v[34:35], s[4:5], v[124:125] op_sel:[0,0,1] op_sel_hi:[1,0,0] neg_lo:[0,0,1] neg_hi:[0,0,1]
	v_mov_b32_e32 v128, v126
	v_mov_b32_e32 v129, v125
	v_pk_add_f32 v[106:107], v[128:129], v[106:107]
	v_pk_mul_f32 v[128:129], v[58:59], s[24:25] op_sel_hi:[1,0]
	v_mov_b32_e32 v138, v136
	v_pk_fma_f32 v[130:131], v[54:55], s[22:23], v[128:129] op_sel:[0,0,1] op_sel_hi:[1,0,0]
	v_pk_fma_f32 v[128:129], v[54:55], s[22:23], v[128:129] op_sel:[0,0,1] op_sel_hi:[1,0,0] neg_lo:[0,0,1] neg_hi:[0,0,1]
	v_mov_b32_e32 v132, v130
	v_mov_b32_e32 v133, v129
	v_pk_add_f32 v[132:133], v[0:1], v[132:133]
	v_mov_b32_e32 v139, v135
	v_pk_add_f32 v[132:133], v[138:139], v[132:133]
	v_pk_mul_f32 v[138:139], v[76:77], s[26:27] op_sel_hi:[1,0]
	v_add_u32_e32 v2, 0x400, v60
	v_pk_fma_f32 v[140:141], v[74:75], s[4:5], v[138:139] op_sel:[0,0,1] op_sel_hi:[1,0,0]
	v_pk_fma_f32 v[138:139], v[74:75], s[4:5], v[138:139] op_sel:[0,0,1] op_sel_hi:[1,0,0] neg_lo:[0,0,1] neg_hi:[0,0,1]
	v_mov_b32_e32 v142, v140
	v_mov_b32_e32 v143, v139
	v_pk_add_f32 v[132:133], v[142:143], v[132:133]
	v_pk_mul_f32 v[142:143], v[78:79], s[36:37] op_sel_hi:[1,0]
	v_pk_mul_f32 v[58:59], v[58:59], s[30:31] op_sel_hi:[1,0]
	v_pk_fma_f32 v[144:145], v[50:51], s[28:29], v[142:143] op_sel:[0,0,1] op_sel_hi:[1,0,0]
	v_pk_fma_f32 v[142:143], v[50:51], s[28:29], v[142:143] op_sel:[0,0,1] op_sel_hi:[1,0,0] neg_lo:[0,0,1] neg_hi:[0,0,1]
	v_mov_b32_e32 v146, v144
	v_mov_b32_e32 v147, v143
	v_pk_add_f32 v[132:133], v[146:147], v[132:133]
	v_pk_mul_f32 v[146:147], v[48:49], s[38:39] op_sel_hi:[1,0]
	v_pk_mul_f32 v[70:71], v[70:71], s[38:39] op_sel_hi:[1,0]
	;; [unrolled: 7-line block ×3, first 2 shown]
	v_pk_fma_f32 v[152:153], v[34:35], s[10:11], v[150:151] op_sel:[0,0,1] op_sel_hi:[1,0,0]
	v_pk_fma_f32 v[150:151], v[34:35], s[10:11], v[150:151] op_sel:[0,0,1] op_sel_hi:[1,0,0] neg_lo:[0,0,1] neg_hi:[0,0,1]
	v_mov_b32_e32 v154, v152
	v_mov_b32_e32 v155, v151
	v_pk_add_f32 v[132:133], v[154:155], v[132:133]
	ds_write2_b64 v2, v[106:107], v[132:133] offset0:124 offset1:187
	v_pk_fma_f32 v[106:107], v[54:55], s[28:29], v[58:59] op_sel:[0,0,1] op_sel_hi:[1,0,0]
	v_pk_fma_f32 v[54:55], v[54:55], s[28:29], v[58:59] op_sel:[0,0,1] op_sel_hi:[1,0,0] neg_lo:[0,0,1] neg_hi:[0,0,1]
	v_mov_b32_e32 v58, v106
	v_mov_b32_e32 v59, v55
	v_pk_fma_f32 v[132:133], v[68:69], s[6:7], v[70:71] op_sel:[0,0,1] op_sel_hi:[1,0,0]
	v_pk_fma_f32 v[68:69], v[68:69], s[6:7], v[70:71] op_sel:[0,0,1] op_sel_hi:[1,0,0] neg_lo:[0,0,1] neg_hi:[0,0,1]
	v_pk_add_f32 v[58:59], v[0:1], v[58:59]
	v_mov_b32_e32 v70, v132
	v_mov_b32_e32 v71, v69
	v_pk_add_f32 v[58:59], v[70:71], v[58:59]
	v_pk_mul_f32 v[70:71], v[76:77], s[24:25] op_sel_hi:[1,0]
	v_pk_mul_f32 v[40:41], v[40:41], s[34:35] op_sel_hi:[1,0]
	v_pk_fma_f32 v[76:77], v[74:75], s[22:23], v[70:71] op_sel:[0,0,1] op_sel_hi:[1,0,0]
	v_pk_fma_f32 v[70:71], v[74:75], s[22:23], v[70:71] op_sel:[0,0,1] op_sel_hi:[1,0,0] neg_lo:[0,0,1] neg_hi:[0,0,1]
	v_mov_b32_e32 v74, v76
	v_mov_b32_e32 v75, v71
	v_pk_add_f32 v[58:59], v[74:75], v[58:59]
	v_pk_mul_f32 v[74:75], v[78:79], s[40:41] op_sel_hi:[1,0]
	v_mov_b32_e32 v55, v107
	v_pk_fma_f32 v[78:79], v[50:51], s[4:5], v[74:75] op_sel:[0,0,1] op_sel_hi:[1,0,0]
	v_pk_fma_f32 v[50:51], v[50:51], s[4:5], v[74:75] op_sel:[0,0,1] op_sel_hi:[1,0,0] neg_lo:[0,0,1] neg_hi:[0,0,1]
	v_mov_b32_e32 v74, v78
	v_mov_b32_e32 v75, v51
	v_pk_add_f32 v[58:59], v[74:75], v[58:59]
	v_pk_fma_f32 v[74:75], v[42:43], s[10:11], v[48:49] op_sel:[0,0,1] op_sel_hi:[1,0,0]
	v_pk_fma_f32 v[42:43], v[42:43], s[10:11], v[48:49] op_sel:[0,0,1] op_sel_hi:[1,0,0] neg_lo:[0,0,1] neg_hi:[0,0,1]
	v_mov_b32_e32 v48, v74
	v_mov_b32_e32 v49, v43
	v_pk_add_f32 v[48:49], v[48:49], v[58:59]
	;; [unrolled: 5-line block ×3, first 2 shown]
	v_pk_add_f32 v[48:49], v[0:1], v[54:55]
	v_mov_b32_e32 v69, v133
	v_pk_add_f32 v[48:49], v[68:69], v[48:49]
	v_mov_b32_e32 v71, v77
	;; [unrolled: 2-line block ×5, first 2 shown]
	v_pk_add_f32 v[34:35], v[34:35], v[42:43]
	v_add_u32_e32 v2, 0x800, v60
	v_mov_b32_e32 v129, v131
	v_mov_b32_e32 v53, v85
	ds_write2_b64 v2, v[40:41], v[34:35] offset0:122 offset1:185
	v_pk_add_f32 v[34:35], v[0:1], v[128:129]
	v_mov_b32_e32 v135, v137
	v_pk_add_f32 v[40:41], v[0:1], v[52:53]
	v_mov_b32_e32 v109, v111
	;; [unrolled: 2-line block ×10, first 2 shown]
	v_pk_add_f32 v[34:35], v[150:151], v[34:35]
	v_pk_add_f32 v[40:41], v[124:125], v[40:41]
	v_add_u32_e32 v2, 0xc00, v60
	v_mov_b32_e32 v81, v83
	v_mov_b32_e32 v29, v27
	;; [unrolled: 1-line block ×3, first 2 shown]
	ds_write2_b64 v2, v[34:35], v[40:41] offset0:120 offset1:183
	v_pk_add_f32 v[34:35], v[0:1], v[80:81]
	v_mov_b32_e32 v87, v89
	v_pk_add_f32 v[26:27], v[0:1], v[28:29]
	v_mov_b32_e32 v33, v31
	;; [unrolled: 2-line block ×15, first 2 shown]
	v_pk_add_f32 v[34:35], v[102:103], v[34:35]
	v_pk_add_f32 v[26:27], v[66:67], v[26:27]
	v_add_u32_e32 v2, 0x1000, v60
	v_pk_add_f32 v[0:1], v[24:25], v[0:1]
	ds_write2_b64 v2, v[34:35], v[26:27] offset0:118 offset1:181
	ds_write_b64 v60, v[0:1] offset:6048
.LBB0_23:
	s_or_b64 exec, exec, s[0:1]
	s_waitcnt lgkmcnt(0)
	s_barrier
	s_and_b64 exec, exec, s[8:9]
	s_cbranch_execz .LBB0_25
; %bb.24:
	global_load_dwordx2 v[8:9], v60, s[16:17]
	global_load_dwordx2 v[10:11], v60, s[16:17] offset:728
	global_load_dwordx2 v[12:13], v60, s[16:17] offset:1456
	;; [unrolled: 1-line block ×3, first 2 shown]
	ds_read_b64 v[16:17], v60
	global_load_dwordx2 v[22:23], v60, s[16:17] offset:2912
	global_load_dwordx2 v[26:27], v60, s[16:17] offset:3640
	v_mov_b32_e32 v61, 0
	v_mad_u64_u32 v[24:25], s[2:3], s12, v63, 0
	v_mad_u64_u32 v[20:21], s[0:1], s14, v62, 0
	s_movk_i32 s3, 0x1000
	v_lshl_add_u64 v[30:31], s[16:17], 0, v[60:61]
	v_mov_b32_e32 v28, v21
	v_mov_b32_e32 v32, v25
	v_add_co_u32_e32 v30, vcc, s3, v30
	v_add_u32_e32 v4, 0x800, v60
	v_mad_u64_u32 v[28:29], s[4:5], s15, v62, v[28:29]
	v_mad_u64_u32 v[32:33], s[4:5], s13, v63, v[32:33]
	v_addc_co_u32_e32 v31, vcc, 0, v31, vcc
	ds_read2_b64 v[0:3], v60 offset0:91 offset1:182
	ds_read2_b64 v[4:7], v4 offset0:17 offset1:108
	v_mov_b32_e32 v21, v28
	v_mov_b32_e32 v25, v32
	global_load_dwordx2 v[28:29], v[30:31], off offset:272
	global_load_dwordx2 v[32:33], v[30:31], off offset:1000
	;; [unrolled: 1-line block ×3, first 2 shown]
	v_mov_b32_e32 v18, s18
	v_mov_b32_e32 v19, s19
	v_lshl_add_u64 v[18:19], v[20:21], 3, v[18:19]
	s_mov_b32 s0, 0x14014014
	v_mov_b32_e32 v36, 0x2d8
	v_lshl_add_u64 v[18:19], v[24:25], 3, v[18:19]
	s_mov_b32 s1, 0x3f540140
	s_mul_i32 s2, s13, 0x2d8
	v_mad_u64_u32 v[20:21], s[4:5], s12, v36, v[18:19]
	v_add_u32_e32 v21, s2, v21
	v_mad_u64_u32 v[24:25], s[4:5], s12, v36, v[20:21]
	v_add_u32_e32 v25, s2, v25
	s_waitcnt vmcnt(8) lgkmcnt(2)
	v_mul_f32_e32 v30, v17, v9
	v_mul_f32_e32 v9, v16, v9
	s_waitcnt vmcnt(7) lgkmcnt(1)
	v_mul_f32_e32 v31, v1, v11
	v_mul_f32_e32 v11, v0, v11
	s_waitcnt vmcnt(6)
	v_mul_f32_e32 v37, v3, v13
	v_mul_f32_e32 v13, v2, v13
	v_fmac_f32_e32 v30, v16, v8
	v_fma_f32 v8, v8, v17, -v9
	s_waitcnt vmcnt(5) lgkmcnt(0)
	v_mul_f32_e32 v38, v5, v15
	v_mul_f32_e32 v15, v4, v15
	v_fmac_f32_e32 v31, v0, v10
	v_fma_f32 v9, v10, v1, -v11
	v_fmac_f32_e32 v37, v2, v12
	v_fma_f32 v12, v12, v3, -v13
	v_cvt_f64_f32_e32 v[0:1], v30
	v_cvt_f64_f32_e32 v[2:3], v8
	v_fmac_f32_e32 v38, v4, v14
	v_fma_f32 v16, v14, v5, -v15
	v_cvt_f64_f32_e32 v[4:5], v31
	v_cvt_f64_f32_e32 v[8:9], v9
	;; [unrolled: 1-line block ×4, first 2 shown]
	v_mul_f64 v[0:1], v[0:1], s[0:1]
	v_mul_f64 v[2:3], v[2:3], s[0:1]
	;; [unrolled: 1-line block ×6, first 2 shown]
	v_cvt_f32_f64_e32 v0, v[0:1]
	v_cvt_f32_f64_e32 v1, v[2:3]
	;; [unrolled: 1-line block ×6, first 2 shown]
	global_store_dwordx2 v[18:19], v[0:1], off
	global_store_dwordx2 v[20:21], v[2:3], off
	global_store_dwordx2 v[24:25], v[4:5], off
	v_cvt_f64_f32_e32 v[0:1], v16
	v_mul_f64 v[0:1], v[0:1], s[0:1]
	v_cvt_f32_f64_e32 v9, v[0:1]
	s_waitcnt vmcnt(7)
	v_mul_f32_e32 v0, v7, v23
	v_cvt_f64_f32_e32 v[14:15], v38
	v_fmac_f32_e32 v0, v6, v22
	v_mul_f64 v[14:15], v[14:15], s[0:1]
	v_mad_u64_u32 v[4:5], s[4:5], s12, v36, v[24:25]
	v_cvt_f64_f32_e32 v[0:1], v0
	v_cvt_f32_f64_e32 v8, v[14:15]
	v_add_u32_e32 v5, s2, v5
	v_mul_f64 v[0:1], v[0:1], s[0:1]
	global_store_dwordx2 v[4:5], v[8:9], off
	v_cvt_f32_f64_e32 v8, v[0:1]
	v_mul_f32_e32 v0, v6, v23
	v_fma_f32 v0, v22, v7, -v0
	v_cvt_f64_f32_e32 v[0:1], v0
	v_mul_f64 v[0:1], v[0:1], s[0:1]
	v_cvt_f32_f64_e32 v9, v[0:1]
	v_add_u32_e32 v0, 0xc00, v60
	ds_read2_b64 v[0:3], v0 offset0:71 offset1:162
	v_mad_u64_u32 v[4:5], s[4:5], s12, v36, v[4:5]
	v_add_u32_e32 v5, s2, v5
	global_store_dwordx2 v[4:5], v[8:9], off
	s_waitcnt vmcnt(8) lgkmcnt(0)
	v_mul_f32_e32 v6, v1, v27
	v_fmac_f32_e32 v6, v0, v26
	v_mul_f32_e32 v0, v0, v27
	v_fma_f32 v0, v26, v1, -v0
	v_cvt_f64_f32_e32 v[6:7], v6
	v_cvt_f64_f32_e32 v[0:1], v0
	v_mul_f64 v[6:7], v[6:7], s[0:1]
	v_mul_f64 v[0:1], v[0:1], s[0:1]
	v_cvt_f32_f64_e32 v6, v[6:7]
	v_cvt_f32_f64_e32 v7, v[0:1]
	s_waitcnt vmcnt(7)
	v_mul_f32_e32 v0, v3, v29
	v_fmac_f32_e32 v0, v2, v28
	v_mad_u64_u32 v[4:5], s[4:5], s12, v36, v[4:5]
	v_cvt_f64_f32_e32 v[0:1], v0
	v_add_u32_e32 v5, s2, v5
	v_mul_f64 v[0:1], v[0:1], s[0:1]
	global_store_dwordx2 v[4:5], v[6:7], off
	v_cvt_f32_f64_e32 v6, v[0:1]
	v_mul_f32_e32 v0, v2, v29
	v_fma_f32 v0, v28, v3, -v0
	v_cvt_f64_f32_e32 v[0:1], v0
	v_mul_f64 v[0:1], v[0:1], s[0:1]
	v_cvt_f32_f64_e32 v7, v[0:1]
	v_add_u32_e32 v0, 0x1000, v60
	ds_read2_b64 v[0:3], v0 offset0:125 offset1:216
	v_mad_u64_u32 v[4:5], s[4:5], s12, v36, v[4:5]
	v_add_u32_e32 v5, s2, v5
	global_store_dwordx2 v[4:5], v[6:7], off
	s_waitcnt vmcnt(8) lgkmcnt(0)
	v_mul_f32_e32 v6, v1, v33
	v_fmac_f32_e32 v6, v0, v32
	v_mul_f32_e32 v0, v0, v33
	v_fma_f32 v0, v32, v1, -v0
	v_cvt_f64_f32_e32 v[6:7], v6
	v_cvt_f64_f32_e32 v[0:1], v0
	v_mul_f64 v[6:7], v[6:7], s[0:1]
	v_mul_f64 v[0:1], v[0:1], s[0:1]
	v_cvt_f32_f64_e32 v6, v[6:7]
	v_cvt_f32_f64_e32 v7, v[0:1]
	v_mad_u64_u32 v[0:1], s[4:5], s12, v36, v[4:5]
	s_waitcnt vmcnt(7)
	v_mul_f32_e32 v4, v3, v35
	v_fmac_f32_e32 v4, v2, v34
	v_mul_f32_e32 v2, v2, v35
	v_fma_f32 v2, v34, v3, -v2
	v_add_u32_e32 v1, s2, v1
	v_cvt_f64_f32_e32 v[4:5], v4
	v_cvt_f64_f32_e32 v[2:3], v2
	global_store_dwordx2 v[0:1], v[6:7], off
	v_mul_f64 v[4:5], v[4:5], s[0:1]
	v_mul_f64 v[2:3], v[2:3], s[0:1]
	v_mad_u64_u32 v[0:1], s[0:1], s12, v36, v[0:1]
	v_cvt_f32_f64_e32 v4, v[4:5]
	v_cvt_f32_f64_e32 v5, v[2:3]
	v_add_u32_e32 v1, s2, v1
	global_store_dwordx2 v[0:1], v[4:5], off
.LBB0_25:
	s_endpgm
	.section	.rodata,"a",@progbits
	.p2align	6, 0x0
	.amdhsa_kernel bluestein_single_back_len819_dim1_sp_op_CI_CI
		.amdhsa_group_segment_fixed_size 6552
		.amdhsa_private_segment_fixed_size 0
		.amdhsa_kernarg_size 104
		.amdhsa_user_sgpr_count 2
		.amdhsa_user_sgpr_dispatch_ptr 0
		.amdhsa_user_sgpr_queue_ptr 0
		.amdhsa_user_sgpr_kernarg_segment_ptr 1
		.amdhsa_user_sgpr_dispatch_id 0
		.amdhsa_user_sgpr_kernarg_preload_length 0
		.amdhsa_user_sgpr_kernarg_preload_offset 0
		.amdhsa_user_sgpr_private_segment_size 0
		.amdhsa_uses_dynamic_stack 0
		.amdhsa_enable_private_segment 0
		.amdhsa_system_sgpr_workgroup_id_x 1
		.amdhsa_system_sgpr_workgroup_id_y 0
		.amdhsa_system_sgpr_workgroup_id_z 0
		.amdhsa_system_sgpr_workgroup_info 0
		.amdhsa_system_vgpr_workitem_id 0
		.amdhsa_next_free_vgpr 172
		.amdhsa_next_free_sgpr 52
		.amdhsa_accum_offset 172
		.amdhsa_reserve_vcc 1
		.amdhsa_float_round_mode_32 0
		.amdhsa_float_round_mode_16_64 0
		.amdhsa_float_denorm_mode_32 3
		.amdhsa_float_denorm_mode_16_64 3
		.amdhsa_dx10_clamp 1
		.amdhsa_ieee_mode 1
		.amdhsa_fp16_overflow 0
		.amdhsa_tg_split 0
		.amdhsa_exception_fp_ieee_invalid_op 0
		.amdhsa_exception_fp_denorm_src 0
		.amdhsa_exception_fp_ieee_div_zero 0
		.amdhsa_exception_fp_ieee_overflow 0
		.amdhsa_exception_fp_ieee_underflow 0
		.amdhsa_exception_fp_ieee_inexact 0
		.amdhsa_exception_int_div_zero 0
	.end_amdhsa_kernel
	.text
.Lfunc_end0:
	.size	bluestein_single_back_len819_dim1_sp_op_CI_CI, .Lfunc_end0-bluestein_single_back_len819_dim1_sp_op_CI_CI
                                        ; -- End function
	.section	.AMDGPU.csdata,"",@progbits
; Kernel info:
; codeLenInByte = 12656
; NumSgprs: 58
; NumVgprs: 172
; NumAgprs: 0
; TotalNumVgprs: 172
; ScratchSize: 0
; MemoryBound: 0
; FloatMode: 240
; IeeeMode: 1
; LDSByteSize: 6552 bytes/workgroup (compile time only)
; SGPRBlocks: 7
; VGPRBlocks: 21
; NumSGPRsForWavesPerEU: 58
; NumVGPRsForWavesPerEU: 172
; AccumOffset: 172
; Occupancy: 2
; WaveLimiterHint : 1
; COMPUTE_PGM_RSRC2:SCRATCH_EN: 0
; COMPUTE_PGM_RSRC2:USER_SGPR: 2
; COMPUTE_PGM_RSRC2:TRAP_HANDLER: 0
; COMPUTE_PGM_RSRC2:TGID_X_EN: 1
; COMPUTE_PGM_RSRC2:TGID_Y_EN: 0
; COMPUTE_PGM_RSRC2:TGID_Z_EN: 0
; COMPUTE_PGM_RSRC2:TIDIG_COMP_CNT: 0
; COMPUTE_PGM_RSRC3_GFX90A:ACCUM_OFFSET: 42
; COMPUTE_PGM_RSRC3_GFX90A:TG_SPLIT: 0
	.text
	.p2alignl 6, 3212836864
	.fill 256, 4, 3212836864
	.type	__hip_cuid_3f59341ec32ab87c,@object ; @__hip_cuid_3f59341ec32ab87c
	.section	.bss,"aw",@nobits
	.globl	__hip_cuid_3f59341ec32ab87c
__hip_cuid_3f59341ec32ab87c:
	.byte	0                               ; 0x0
	.size	__hip_cuid_3f59341ec32ab87c, 1

	.ident	"AMD clang version 19.0.0git (https://github.com/RadeonOpenCompute/llvm-project roc-6.4.0 25133 c7fe45cf4b819c5991fe208aaa96edf142730f1d)"
	.section	".note.GNU-stack","",@progbits
	.addrsig
	.addrsig_sym __hip_cuid_3f59341ec32ab87c
	.amdgpu_metadata
---
amdhsa.kernels:
  - .agpr_count:     0
    .args:
      - .actual_access:  read_only
        .address_space:  global
        .offset:         0
        .size:           8
        .value_kind:     global_buffer
      - .actual_access:  read_only
        .address_space:  global
        .offset:         8
        .size:           8
        .value_kind:     global_buffer
      - .actual_access:  read_only
        .address_space:  global
        .offset:         16
        .size:           8
        .value_kind:     global_buffer
      - .actual_access:  read_only
        .address_space:  global
        .offset:         24
        .size:           8
        .value_kind:     global_buffer
      - .actual_access:  read_only
        .address_space:  global
        .offset:         32
        .size:           8
        .value_kind:     global_buffer
      - .offset:         40
        .size:           8
        .value_kind:     by_value
      - .address_space:  global
        .offset:         48
        .size:           8
        .value_kind:     global_buffer
      - .address_space:  global
        .offset:         56
        .size:           8
        .value_kind:     global_buffer
      - .address_space:  global
        .offset:         64
        .size:           8
        .value_kind:     global_buffer
      - .address_space:  global
        .offset:         72
        .size:           8
        .value_kind:     global_buffer
      - .offset:         80
        .size:           4
        .value_kind:     by_value
      - .address_space:  global
        .offset:         88
        .size:           8
        .value_kind:     global_buffer
      - .address_space:  global
        .offset:         96
        .size:           8
        .value_kind:     global_buffer
    .group_segment_fixed_size: 6552
    .kernarg_segment_align: 8
    .kernarg_segment_size: 104
    .language:       OpenCL C
    .language_version:
      - 2
      - 0
    .max_flat_workgroup_size: 117
    .name:           bluestein_single_back_len819_dim1_sp_op_CI_CI
    .private_segment_fixed_size: 0
    .sgpr_count:     58
    .sgpr_spill_count: 0
    .symbol:         bluestein_single_back_len819_dim1_sp_op_CI_CI.kd
    .uniform_work_group_size: 1
    .uses_dynamic_stack: false
    .vgpr_count:     172
    .vgpr_spill_count: 0
    .wavefront_size: 64
amdhsa.target:   amdgcn-amd-amdhsa--gfx950
amdhsa.version:
  - 1
  - 2
...

	.end_amdgpu_metadata
